;; amdgpu-corpus repo=ROCm/rocFFT kind=compiled arch=gfx906 opt=O3
	.text
	.amdgcn_target "amdgcn-amd-amdhsa--gfx906"
	.amdhsa_code_object_version 6
	.protected	bluestein_single_fwd_len1404_dim1_dp_op_CI_CI ; -- Begin function bluestein_single_fwd_len1404_dim1_dp_op_CI_CI
	.globl	bluestein_single_fwd_len1404_dim1_dp_op_CI_CI
	.p2align	8
	.type	bluestein_single_fwd_len1404_dim1_dp_op_CI_CI,@function
bluestein_single_fwd_len1404_dim1_dp_op_CI_CI: ; @bluestein_single_fwd_len1404_dim1_dp_op_CI_CI
; %bb.0:
	s_load_dwordx4 s[16:19], s[4:5], 0x28
	s_mov_b64 s[54:55], s[2:3]
	v_mul_u32_u24_e32 v1, 0x231, v0
	s_mov_b64 s[52:53], s[0:1]
	v_add_u32_sdwa v4, s6, v1 dst_sel:DWORD dst_unused:UNUSED_PAD src0_sel:DWORD src1_sel:WORD_1
	v_mov_b32_e32 v5, 0
	s_add_u32 s52, s52, s7
	s_waitcnt lgkmcnt(0)
	v_cmp_gt_u64_e32 vcc, s[16:17], v[4:5]
	s_addc_u32 s53, s53, 0
	s_and_saveexec_b64 s[0:1], vcc
	s_cbranch_execz .LBB0_10
; %bb.1:
	s_load_dwordx4 s[0:3], s[4:5], 0x18
	s_load_dwordx4 s[12:15], s[4:5], 0x0
	v_mov_b32_e32 v5, v4
                                        ; implicit-def: $vgpr112_vgpr113
	s_waitcnt lgkmcnt(0)
	s_load_dwordx4 s[8:11], s[0:1], 0x0
	s_movk_i32 s0, 0x75
	v_mul_lo_u16_sdwa v1, v1, s0 dst_sel:DWORD dst_unused:UNUSED_PAD src0_sel:WORD_1 src1_sel:DWORD
	v_sub_u16_e32 v220, v0, v1
	buffer_store_dword v5, off, s[52:55], 0 offset:16 ; 4-byte Folded Spill
	s_nop 0
	buffer_store_dword v6, off, s[52:55], 0 offset:20 ; 4-byte Folded Spill
	s_waitcnt lgkmcnt(0)
	v_mad_u64_u32 v[0:1], s[6:7], s10, v4, 0
	v_mad_u64_u32 v[2:3], s[6:7], s8, v220, 0
	v_lshlrev_b32_e32 v255, 4, v220
	s_mul_i32 s1, s9, 0x2be0
	v_mad_u64_u32 v[4:5], s[6:7], s11, v4, v[1:2]
	v_lshlrev_b32_e32 v244, 5, v220
	v_mad_u64_u32 v[5:6], s[6:7], s9, v220, v[3:4]
	v_mov_b32_e32 v1, v4
	v_lshlrev_b64 v[0:1], 4, v[0:1]
	v_mov_b32_e32 v6, s19
	v_mov_b32_e32 v3, v5
	v_add_co_u32_e32 v4, vcc, s18, v0
	v_addc_co_u32_e32 v5, vcc, v6, v1, vcc
	v_lshlrev_b64 v[0:1], 4, v[2:3]
	s_mul_hi_u32 s6, s8, 0x2be0
	v_add_co_u32_e32 v8, vcc, v4, v0
	v_addc_co_u32_e32 v9, vcc, v5, v1, vcc
	v_mov_b32_e32 v0, s13
	v_add_co_u32_e32 v32, vcc, s12, v255
	v_addc_co_u32_e32 v33, vcc, 0, v0, vcc
	s_add_i32 s1, s6, s1
	s_mul_i32 s6, s8, 0x2be0
	v_mov_b32_e32 v0, s1
	v_add_co_u32_e32 v10, vcc, s6, v8
	v_addc_co_u32_e32 v11, vcc, v9, v0, vcc
	s_movk_i32 s7, 0x2000
	v_add_co_u32_e32 v24, vcc, s7, v32
	v_addc_co_u32_e32 v25, vcc, 0, v33, vcc
	global_load_dwordx4 v[0:3], v[8:9], off
	global_load_dwordx4 v[4:7], v[10:11], off
	global_load_dwordx4 v[35:38], v[24:25], off offset:3040
	global_load_dwordx4 v[92:95], v255, s[12:13]
	global_load_dwordx4 v[84:87], v255, s[12:13] offset:1872
	s_mul_i32 s7, s9, 0xffffdb70
	s_mul_hi_u32 s9, s8, 0xffffdb70
	s_sub_i32 s9, s9, s8
	s_add_i32 s7, s9, s7
	s_mulk_i32 s8, 0xdb70
	v_mov_b32_e32 v8, s7
	v_add_co_u32_e32 v16, vcc, s8, v10
	v_addc_co_u32_e32 v17, vcc, v11, v8, vcc
	v_mov_b32_e32 v8, s1
	v_add_co_u32_e32 v18, vcc, s6, v16
	v_addc_co_u32_e32 v19, vcc, v17, v8, vcc
	s_movk_i32 s9, 0x3000
	v_add_co_u32_e32 v26, vcc, s9, v32
	v_addc_co_u32_e32 v27, vcc, 0, v33, vcc
	global_load_dwordx4 v[8:11], v[16:17], off
	global_load_dwordx4 v[12:15], v[18:19], off
	v_mov_b32_e32 v16, s7
	v_add_co_u32_e32 v20, vcc, s8, v18
	v_addc_co_u32_e32 v21, vcc, v19, v16, vcc
	v_mov_b32_e32 v22, s1
	v_add_co_u32_e32 v28, vcc, s6, v20
	v_addc_co_u32_e32 v29, vcc, v21, v22, vcc
	global_load_dwordx4 v[16:19], v[20:21], off
	global_load_dwordx4 v[72:75], v255, s[12:13] offset:3744
	s_nop 0
	global_load_dwordx4 v[20:23], v[28:29], off
	global_load_dwordx4 v[96:99], v[26:27], off offset:816
	global_load_dwordx4 v[39:42], v[26:27], off offset:2688
	v_mov_b32_e32 v27, s7
	v_add_co_u32_e32 v26, vcc, s8, v28
	v_addc_co_u32_e32 v27, vcc, v29, v27, vcc
	s_movk_i32 s9, 0x1000
	v_add_co_u32_e32 v28, vcc, s9, v32
	v_addc_co_u32_e32 v29, vcc, 0, v33, vcc
	global_load_dwordx4 v[48:51], v[26:27], off
	v_mov_b32_e32 v30, s1
	v_add_co_u32_e32 v26, vcc, s6, v26
	v_addc_co_u32_e32 v27, vcc, v27, v30, vcc
	s_movk_i32 s9, 0x4000
	v_add_co_u32_e32 v30, vcc, s9, v32
	v_addc_co_u32_e32 v31, vcc, 0, v33, vcc
	global_load_dwordx4 v[52:55], v[26:27], off
	v_mov_b32_e32 v34, s7
	v_add_co_u32_e32 v26, vcc, s8, v26
	v_addc_co_u32_e32 v27, vcc, v27, v34, vcc
	global_load_dwordx4 v[56:59], v[26:27], off
	global_load_dwordx4 v[100:103], v[28:29], off offset:1520
	global_load_dwordx4 v[76:79], v[28:29], off offset:3392
	v_mov_b32_e32 v28, s1
	v_add_co_u32_e32 v26, vcc, s6, v26
	v_addc_co_u32_e32 v27, vcc, v27, v28, vcc
	global_load_dwordx4 v[60:63], v[26:27], off
	global_load_dwordx4 v[104:107], v[30:31], off offset:464
	global_load_dwordx4 v[43:46], v[30:31], off offset:2336
	v_mov_b32_e32 v28, s7
	v_add_co_u32_e32 v26, vcc, s8, v26
	v_addc_co_u32_e32 v27, vcc, v27, v28, vcc
	global_load_dwordx4 v[64:67], v[26:27], off
	global_load_dwordx4 v[80:83], v[24:25], off offset:1168
	v_mov_b32_e32 v25, s1
	v_add_co_u32_e32 v24, vcc, s6, v26
	v_addc_co_u32_e32 v25, vcc, v27, v25, vcc
	s_movk_i32 s1, 0x5000
	global_load_dwordx4 v[68:71], v[24:25], off
	v_add_co_u32_e32 v24, vcc, s1, v32
	v_addc_co_u32_e32 v25, vcc, 0, v33, vcc
	global_load_dwordx4 v[88:91], v[24:25], off offset:112
	s_waitcnt vmcnt(20)
	v_mul_f64 v[24:25], v[2:3], v[94:95]
	v_mul_f64 v[28:29], v[6:7], v[37:38]
	v_mul_f64 v[26:27], v[0:1], v[94:95]
	v_mul_f64 v[30:31], v[4:5], v[37:38]
	v_fma_f64 v[0:1], v[0:1], v[92:93], v[24:25]
	buffer_store_dword v92, off, s[52:55], 0 offset:152 ; 4-byte Folded Spill
	s_nop 0
	buffer_store_dword v93, off, s[52:55], 0 offset:156 ; 4-byte Folded Spill
	buffer_store_dword v94, off, s[52:55], 0 offset:160 ; 4-byte Folded Spill
	;; [unrolled: 1-line block ×3, first 2 shown]
	v_fma_f64 v[4:5], v[4:5], v[35:36], v[28:29]
	buffer_store_dword v35, off, s[52:55], 0 offset:24 ; 4-byte Folded Spill
	s_nop 0
	buffer_store_dword v36, off, s[52:55], 0 offset:28 ; 4-byte Folded Spill
	buffer_store_dword v37, off, s[52:55], 0 offset:32 ; 4-byte Folded Spill
	;; [unrolled: 1-line block ×3, first 2 shown]
	s_load_dwordx4 s[8:11], s[2:3], 0x0
	s_waitcnt vmcnt(26)
	v_mul_f64 v[24:25], v[10:11], v[86:87]
	s_load_dwordx2 s[2:3], s[4:5], 0x38
	s_mov_b32 s5, 0xbfebb67a
	s_waitcnt vmcnt(21)
	v_mul_f64 v[28:29], v[14:15], v[98:99]
	v_fma_f64 v[2:3], v[2:3], v[92:93], -v[26:27]
	v_mul_f64 v[26:27], v[8:9], v[86:87]
	v_fma_f64 v[6:7], v[6:7], v[35:36], -v[30:31]
	ds_write_b128 v255, v[0:3]
	ds_write_b128 v255, v[4:7] offset:11232
	v_fma_f64 v[0:1], v[8:9], v[84:85], v[24:25]
	buffer_store_dword v84, off, s[52:55], 0 offset:120 ; 4-byte Folded Spill
	s_nop 0
	buffer_store_dword v85, off, s[52:55], 0 offset:124 ; 4-byte Folded Spill
	buffer_store_dword v86, off, s[52:55], 0 offset:128 ; 4-byte Folded Spill
	buffer_store_dword v87, off, s[52:55], 0 offset:132 ; 4-byte Folded Spill
	v_mul_f64 v[30:31], v[12:13], v[98:99]
	v_fma_f64 v[4:5], v[12:13], v[96:97], v[28:29]
	buffer_store_dword v96, off, s[52:55], 0 offset:168 ; 4-byte Folded Spill
	s_nop 0
	buffer_store_dword v97, off, s[52:55], 0 offset:172 ; 4-byte Folded Spill
	buffer_store_dword v98, off, s[52:55], 0 offset:176 ; 4-byte Folded Spill
	;; [unrolled: 1-line block ×3, first 2 shown]
	v_mul_f64 v[8:9], v[18:19], v[74:75]
	s_waitcnt vmcnt(28)
	v_mul_f64 v[12:13], v[22:23], v[41:42]
	v_add_co_u32_e32 v28, vcc, s0, v220
	s_movk_i32 s0, 0xea
	v_lshlrev_b32_e32 v247, 5, v28
	v_add_u32_e32 v25, 0x249, v220
	v_lshlrev_b32_e32 v231, 1, v28
	v_fma_f64 v[8:9], v[16:17], v[72:73], v[8:9]
	v_fma_f64 v[2:3], v[10:11], v[84:85], -v[26:27]
	v_mul_f64 v[10:11], v[16:17], v[74:75]
	buffer_store_dword v72, off, s[52:55], 0 offset:72 ; 4-byte Folded Spill
	s_nop 0
	buffer_store_dword v73, off, s[52:55], 0 offset:76 ; 4-byte Folded Spill
	buffer_store_dword v74, off, s[52:55], 0 offset:80 ; 4-byte Folded Spill
	;; [unrolled: 1-line block ×3, first 2 shown]
	v_fma_f64 v[6:7], v[14:15], v[96:97], -v[30:31]
	v_mul_f64 v[14:15], v[20:21], v[41:42]
	ds_write_b128 v255, v[0:3] offset:1872
	ds_write_b128 v255, v[4:7] offset:13104
	v_fma_f64 v[0:1], v[20:21], v[39:40], v[12:13]
	buffer_store_dword v39, off, s[52:55], 0 offset:40 ; 4-byte Folded Spill
	s_nop 0
	buffer_store_dword v40, off, s[52:55], 0 offset:44 ; 4-byte Folded Spill
	buffer_store_dword v41, off, s[52:55], 0 offset:48 ; 4-byte Folded Spill
	;; [unrolled: 1-line block ×3, first 2 shown]
	s_waitcnt vmcnt(32)
	v_mul_f64 v[4:5], v[50:51], v[102:103]
	v_mul_f64 v[6:7], v[48:49], v[102:103]
	s_waitcnt vmcnt(28)
	v_mul_f64 v[12:13], v[62:63], v[45:46]
	s_waitcnt vmcnt(26)
	;; [unrolled: 2-line block ×3, first 2 shown]
	v_mul_f64 v[20:21], v[70:71], v[90:91]
	v_add_co_u32_e64 v26, s[0:1], s0, v220
	s_movk_i32 s0, 0x15f
	v_add_co_u32_e64 v27, s[0:1], s0, v220
	v_fma_f64 v[12:13], v[60:61], v[43:44], v[12:13]
	v_fma_f64 v[16:17], v[64:65], v[80:81], v[16:17]
	;; [unrolled: 1-line block ×3, first 2 shown]
	v_lshlrev_b32_e32 v248, 5, v26
	v_and_b32_e32 v74, 1, v28
	s_movk_i32 s0, 0xfc
	v_lshlrev_b32_e32 v75, 1, v26
	v_fma_f64 v[10:11], v[18:19], v[72:73], -v[10:11]
	v_mul_f64 v[18:19], v[64:65], v[82:83]
	v_and_b32_e32 v73, 1, v27
	v_and_b32_e32 v72, 1, v25
	ds_write_b128 v255, v[8:11] offset:3744
	v_mul_f64 v[8:9], v[54:55], v[106:107]
	v_fma_f64 v[2:3], v[22:23], v[39:40], -v[14:15]
	v_mul_f64 v[10:11], v[52:53], v[106:107]
	v_mul_f64 v[14:15], v[60:61], v[45:46]
	;; [unrolled: 1-line block ×3, first 2 shown]
	ds_write_b128 v255, v[0:3] offset:14976
	v_fma_f64 v[0:1], v[48:49], v[100:101], v[4:5]
	buffer_store_dword v100, off, s[52:55], 0 offset:184 ; 4-byte Folded Spill
	s_nop 0
	buffer_store_dword v101, off, s[52:55], 0 offset:188 ; 4-byte Folded Spill
	buffer_store_dword v102, off, s[52:55], 0 offset:192 ; 4-byte Folded Spill
	;; [unrolled: 1-line block ×3, first 2 shown]
	v_fma_f64 v[4:5], v[52:53], v[104:105], v[8:9]
	buffer_store_dword v104, off, s[52:55], 0 offset:200 ; 4-byte Folded Spill
	s_nop 0
	buffer_store_dword v105, off, s[52:55], 0 offset:204 ; 4-byte Folded Spill
	buffer_store_dword v106, off, s[52:55], 0 offset:208 ; 4-byte Folded Spill
	;; [unrolled: 1-line block ×3, first 2 shown]
	v_mul_f64 v[8:9], v[58:59], v[78:79]
	v_fma_f64 v[8:9], v[56:57], v[76:77], v[8:9]
	v_fma_f64 v[2:3], v[50:51], v[100:101], -v[6:7]
	v_fma_f64 v[6:7], v[54:55], v[104:105], -v[10:11]
	v_mul_f64 v[10:11], v[56:57], v[78:79]
	buffer_store_dword v76, off, s[52:55], 0 offset:88 ; 4-byte Folded Spill
	s_nop 0
	buffer_store_dword v77, off, s[52:55], 0 offset:92 ; 4-byte Folded Spill
	buffer_store_dword v78, off, s[52:55], 0 offset:96 ; 4-byte Folded Spill
	buffer_store_dword v79, off, s[52:55], 0 offset:100 ; 4-byte Folded Spill
	buffer_store_dword v43, off, s[52:55], 0 offset:56 ; 4-byte Folded Spill
	s_nop 0
	buffer_store_dword v44, off, s[52:55], 0 offset:60 ; 4-byte Folded Spill
	buffer_store_dword v45, off, s[52:55], 0 offset:64 ; 4-byte Folded Spill
	buffer_store_dword v46, off, s[52:55], 0 offset:68 ; 4-byte Folded Spill
	;; [unrolled: 5-line block ×4, first 2 shown]
	ds_write_b128 v255, v[0:3] offset:5616
	ds_write_b128 v255, v[4:7] offset:16848
	v_lshlrev_b32_e32 v0, 1, v220
	v_add_u32_e32 v45, 0x3a8, v0
	v_lshlrev_b32_e32 v82, 4, v0
	v_and_b32_e32 v46, 1, v220
	v_and_or_b32 v0, v0, s0, v46
	v_lshlrev_b32_e32 v0, 4, v0
	s_movk_i32 s0, 0x1fc
	v_fma_f64 v[10:11], v[58:59], v[76:77], -v[10:11]
	v_fma_f64 v[14:15], v[62:63], v[43:44], -v[14:15]
	;; [unrolled: 1-line block ×4, first 2 shown]
	ds_write_b128 v255, v[8:11] offset:7488
	ds_write_b128 v255, v[12:15] offset:18720
	;; [unrolled: 1-line block ×4, first 2 shown]
	s_waitcnt vmcnt(0) lgkmcnt(0)
	s_barrier
	ds_read_b128 v[1:4], v255
	ds_read_b128 v[5:8], v255 offset:1872
	ds_read_b128 v[9:12], v255 offset:11232
	;; [unrolled: 1-line block ×11, first 2 shown]
	s_waitcnt lgkmcnt(9)
	v_add_f64 v[9:10], v[1:2], -v[9:10]
	v_add_f64 v[11:12], v[3:4], -v[11:12]
	s_waitcnt lgkmcnt(8)
	v_add_f64 v[13:14], v[5:6], -v[13:14]
	v_add_f64 v[15:16], v[7:8], -v[15:16]
	;; [unrolled: 3-line block ×6, first 2 shown]
	v_fma_f64 v[1:2], v[1:2], 2.0, -v[9:10]
	v_fma_f64 v[3:4], v[3:4], 2.0, -v[11:12]
	;; [unrolled: 1-line block ×12, first 2 shown]
	s_barrier
	ds_write_b128 v244, v[1:4]
	ds_write_b128 v244, v[9:12] offset:16
	v_lshlrev_b32_e32 v1, 5, v27
	ds_write_b128 v247, v[5:8]
	ds_write_b128 v247, v[13:16] offset:16
	ds_write_b128 v248, v[17:20]
	ds_write_b128 v248, v[48:51] offset:16
	ds_write_b128 v1, v[21:24]
	buffer_store_dword v1, off, s[52:55], 0 offset:224 ; 4-byte Folded Spill
	ds_write_b128 v1, v[52:55] offset:16
	v_lshlrev_b32_e32 v1, 4, v45
	buffer_store_dword v1, off, s[52:55], 0 offset:228 ; 4-byte Folded Spill
	ds_write_b128 v1, v[64:67] offset:16
	v_lshlrev_b32_e32 v1, 5, v25
	ds_write_b128 v82, v[56:59] offset:14976
	buffer_store_dword v1, off, s[52:55], 0 offset:232 ; 4-byte Folded Spill
	ds_write_b128 v1, v[68:71] offset:16
	v_lshlrev_b32_e32 v1, 4, v46
	v_lshlrev_b32_e32 v2, 4, v73
	ds_write_b128 v244, v[60:63] offset:18720
	s_waitcnt vmcnt(0) lgkmcnt(0)
	s_barrier
	global_load_dwordx4 v[148:151], v1, s[14:15]
	global_load_dwordx4 v[160:163], v2, s[14:15]
	v_lshlrev_b32_e32 v1, 4, v72
	global_load_dwordx4 v[144:147], v1, s[14:15]
	v_lshlrev_b32_e32 v2, 4, v74
	global_load_dwordx2 v[79:80], v2, s[14:15]
	global_load_dwordx2 v[77:78], v1, s[14:15] offset:8
	ds_read_b128 v[1:4], v255
	ds_read_b128 v[5:8], v255 offset:1872
	ds_read_b128 v[9:12], v255 offset:11232
	;; [unrolled: 1-line block ×11, first 2 shown]
	v_lshlrev_b32_e32 v76, 1, v27
	v_lshlrev_b32_e32 v25, 1, v25
	v_and_b32_e32 v81, 3, v27
	s_waitcnt vmcnt(4) lgkmcnt(9)
	v_mul_f64 v[29:30], v[11:12], v[150:151]
	s_waitcnt vmcnt(3) lgkmcnt(4)
	v_mul_f64 v[41:42], v[54:55], v[162:163]
	v_mul_f64 v[31:32], v[9:10], v[150:151]
	s_waitcnt vmcnt(2)
	v_mul_f64 v[33:34], v[15:16], v[146:147]
	v_mul_f64 v[35:36], v[13:14], v[146:147]
	;; [unrolled: 1-line block ×5, first 2 shown]
	v_fma_f64 v[9:10], v[9:10], v[148:149], -v[29:30]
	v_fma_f64 v[11:12], v[11:12], v[148:149], v[31:32]
	s_waitcnt vmcnt(1)
	v_fma_f64 v[13:14], v[13:14], v[79:80], -v[33:34]
	buffer_store_dword v79, off, s[52:55], 0 offset:268 ; 4-byte Folded Spill
	s_nop 0
	buffer_store_dword v80, off, s[52:55], 0 offset:272 ; 4-byte Folded Spill
	v_fma_f64 v[33:34], v[52:53], v[160:161], -v[41:42]
	s_waitcnt vmcnt(2) lgkmcnt(0)
	v_mul_f64 v[41:42], v[70:71], v[77:78]
	buffer_store_dword v77, off, s[52:55], 0 offset:236 ; 4-byte Folded Spill
	s_nop 0
	buffer_store_dword v78, off, s[52:55], 0 offset:240 ; 4-byte Folded Spill
	v_fma_f64 v[29:30], v[48:49], v[148:149], -v[37:38]
	v_fma_f64 v[31:32], v[50:51], v[148:149], v[39:40]
	v_mul_f64 v[37:38], v[66:67], v[150:151]
	v_mul_f64 v[39:40], v[64:65], v[150:151]
	v_add_f64 v[9:10], v[1:2], -v[9:10]
	v_add_f64 v[11:12], v[3:4], -v[11:12]
	;; [unrolled: 1-line block ×3, first 2 shown]
	v_fma_f64 v[41:42], v[68:69], v[144:145], -v[41:42]
	v_add_f64 v[48:49], v[17:18], -v[29:30]
	v_add_f64 v[50:51], v[19:20], -v[31:32]
	v_fma_f64 v[37:38], v[64:65], v[148:149], -v[37:38]
	v_fma_f64 v[39:40], v[66:67], v[148:149], v[39:40]
	v_add_f64 v[52:53], v[21:22], -v[33:34]
	v_fma_f64 v[1:2], v[1:2], 2.0, -v[9:10]
	v_fma_f64 v[3:4], v[3:4], 2.0, -v[11:12]
	v_fma_f64 v[5:6], v[5:6], 2.0, -v[13:14]
	v_fma_f64 v[17:18], v[17:18], 2.0, -v[48:49]
	v_fma_f64 v[19:20], v[19:20], 2.0, -v[50:51]
	v_add_f64 v[64:65], v[56:57], -v[37:38]
	v_add_f64 v[66:67], v[58:59], -v[39:40]
	v_fma_f64 v[21:22], v[21:22], 2.0, -v[52:53]
	s_waitcnt vmcnt(0)
	s_barrier
	ds_write_b128 v0, v[1:4]
	buffer_store_dword v0, off, s[52:55], 0 offset:244 ; 4-byte Folded Spill
	v_fma_f64 v[56:57], v[56:57], 2.0, -v[64:65]
	v_fma_f64 v[58:59], v[58:59], 2.0, -v[66:67]
	ds_write_b128 v0, v[9:12] offset:32
	v_and_or_b32 v0, v231, s0, v74
	v_lshlrev_b32_e32 v0, 4, v0
	s_movk_i32 s0, 0x3fc
	buffer_store_dword v0, off, s[52:55], 0 offset:248 ; 4-byte Folded Spill
	v_fma_f64 v[15:16], v[15:16], v[79:80], v[35:36]
	v_fma_f64 v[35:36], v[54:55], v[160:161], v[43:44]
	v_and_b32_e32 v80, 3, v26
	v_mul_f64 v[43:44], v[68:69], v[77:78]
	v_add_f64 v[68:69], v[60:61], -v[41:42]
	v_add_f64 v[15:16], v[7:8], -v[15:16]
	;; [unrolled: 1-line block ×3, first 2 shown]
	v_fma_f64 v[43:44], v[70:71], v[144:145], v[43:44]
	v_fma_f64 v[60:61], v[60:61], 2.0, -v[68:69]
	v_fma_f64 v[7:8], v[7:8], 2.0, -v[15:16]
	;; [unrolled: 1-line block ×3, first 2 shown]
	ds_write_b128 v0, v[13:16] offset:32
	v_add_f64 v[70:71], v[62:63], -v[43:44]
	ds_write_b128 v0, v[5:8]
	v_and_or_b32 v0, v75, s0, v46
	v_lshlrev_b32_e32 v0, 4, v0
	v_fma_f64 v[62:63], v[62:63], 2.0, -v[70:71]
	ds_write_b128 v0, v[17:20]
	buffer_store_dword v0, off, s[52:55], 0 offset:252 ; 4-byte Folded Spill
	ds_write_b128 v0, v[48:51] offset:32
	v_and_or_b32 v0, v76, s0, v73
	v_lshlrev_b32_e32 v0, 4, v0
	s_movk_i32 s0, 0x7fc
	ds_write_b128 v0, v[21:24]
	buffer_store_dword v0, off, s[52:55], 0 offset:256 ; 4-byte Folded Spill
	ds_write_b128 v0, v[52:55] offset:32
	v_and_or_b32 v0, v45, s0, v46
	v_lshlrev_b32_e32 v0, 4, v0
	s_movk_i32 s0, 0x5fc
	ds_write_b128 v0, v[56:59]
	buffer_store_dword v0, off, s[52:55], 0 offset:260 ; 4-byte Folded Spill
	ds_write_b128 v0, v[64:67] offset:32
	v_and_or_b32 v0, v25, s0, v72
	v_lshlrev_b32_e32 v0, 4, v0
	v_and_b32_e32 v45, 3, v220
	ds_write_b128 v0, v[60:63]
	buffer_store_dword v0, off, s[52:55], 0 offset:264 ; 4-byte Folded Spill
	ds_write_b128 v0, v[68:71] offset:32
	v_lshlrev_b32_e32 v0, 5, v45
	s_waitcnt vmcnt(0) lgkmcnt(0)
	s_barrier
	global_load_dwordx4 v[176:179], v0, s[14:15] offset:32
	global_load_dwordx4 v[164:167], v0, s[14:15] offset:48
	v_and_b32_e32 v46, 3, v28
	v_lshlrev_b32_e32 v0, 5, v46
	global_load_dwordx4 v[180:183], v0, s[14:15] offset:32
	global_load_dwordx4 v[168:171], v0, s[14:15] offset:48
	v_lshlrev_b32_e32 v0, 5, v80
	global_load_dwordx4 v[188:191], v0, s[14:15] offset:32
	global_load_dwordx4 v[172:175], v0, s[14:15] offset:48
	;; [unrolled: 3-line block ×3, first 2 shown]
	ds_read_b128 v[0:3], v255 offset:7488
	ds_read_b128 v[4:7], v255
	ds_read_b128 v[8:11], v255 offset:1872
	ds_read_b128 v[12:15], v255 offset:9360
	;; [unrolled: 1-line block ×10, first 2 shown]
	v_addc_co_u32_e64 v116, s[0:1], 0, 0, vcc
	s_mov_b32 s0, 0xe8584caa
	s_mov_b32 s1, 0x3febb67a
	;; [unrolled: 1-line block ×3, first 2 shown]
	s_waitcnt vmcnt(0) lgkmcnt(0)
	s_barrier
	v_mul_f64 v[24:25], v[2:3], v[178:179]
	v_mul_f64 v[31:32], v[18:19], v[166:167]
	;; [unrolled: 1-line block ×6, first 2 shown]
	v_fma_f64 v[0:1], v[0:1], v[176:177], -v[24:25]
	v_mul_f64 v[24:25], v[16:17], v[166:167]
	v_fma_f64 v[16:17], v[16:17], v[164:165], -v[31:32]
	v_fma_f64 v[2:3], v[2:3], v[176:177], v[29:30]
	v_mul_f64 v[29:30], v[14:15], v[182:183]
	v_mul_f64 v[31:32], v[20:21], v[170:171]
	v_fma_f64 v[20:21], v[20:21], v[168:169], -v[35:36]
	v_fma_f64 v[14:15], v[14:15], v[180:181], v[33:34]
	v_mul_f64 v[33:34], v[66:67], v[174:175]
	v_fma_f64 v[18:19], v[18:19], v[164:165], v[24:25]
	v_mul_f64 v[24:25], v[48:49], v[190:191]
	v_add_f64 v[39:40], v[0:1], v[16:17]
	v_fma_f64 v[12:13], v[12:13], v[180:181], -v[29:30]
	v_fma_f64 v[22:23], v[22:23], v[168:169], v[31:32]
	v_fma_f64 v[31:32], v[48:49], v[188:189], -v[37:38]
	v_mul_f64 v[37:38], v[52:53], v[198:199]
	v_mul_f64 v[29:30], v[68:69], v[174:175]
	;; [unrolled: 1-line block ×3, first 2 shown]
	v_fma_f64 v[24:25], v[50:51], v[188:189], v[24:25]
	v_add_f64 v[50:51], v[2:3], v[18:19]
	v_add_f64 v[48:49], v[4:5], v[0:1]
	v_fma_f64 v[4:5], v[39:40], -0.5, v[4:5]
	v_add_f64 v[39:40], v[2:3], -v[18:19]
	v_add_f64 v[2:3], v[6:7], v[2:3]
	v_mul_f64 v[41:42], v[72:73], v[194:195]
	v_fma_f64 v[37:38], v[54:55], v[196:197], v[37:38]
	v_add_f64 v[54:55], v[12:13], v[20:21]
	v_fma_f64 v[6:7], v[50:51], -0.5, v[6:7]
	v_add_f64 v[0:1], v[0:1], -v[16:17]
	v_fma_f64 v[29:30], v[66:67], v[172:173], -v[29:30]
	v_mul_f64 v[43:44], v[70:71], v[194:195]
	v_fma_f64 v[33:34], v[68:69], v[172:173], v[33:34]
	v_fma_f64 v[35:36], v[52:53], v[196:197], -v[35:36]
	v_fma_f64 v[52:53], v[39:40], s[0:1], v[4:5]
	v_fma_f64 v[68:69], v[39:40], s[4:5], v[4:5]
	v_add_f64 v[50:51], v[2:3], v[18:19]
	v_add_f64 v[2:3], v[14:15], v[22:23]
	;; [unrolled: 1-line block ×3, first 2 shown]
	v_fma_f64 v[41:42], v[70:71], v[192:193], -v[41:42]
	v_fma_f64 v[8:9], v[54:55], -0.5, v[8:9]
	v_fma_f64 v[54:55], v[0:1], s[4:5], v[6:7]
	v_fma_f64 v[70:71], v[0:1], s[0:1], v[6:7]
	v_add_f64 v[0:1], v[10:11], v[14:15]
	v_fma_f64 v[43:44], v[72:73], v[192:193], v[43:44]
	v_add_f64 v[18:19], v[31:32], v[29:30]
	v_fma_f64 v[2:3], v[2:3], -0.5, v[10:11]
	v_add_f64 v[6:7], v[12:13], -v[20:21]
	v_add_f64 v[92:93], v[4:5], v[20:21]
	v_add_f64 v[4:5], v[58:59], v[31:32]
	;; [unrolled: 1-line block ×3, first 2 shown]
	v_add_f64 v[16:17], v[14:15], -v[22:23]
	v_add_f64 v[94:95], v[0:1], v[22:23]
	v_add_f64 v[0:1], v[24:25], v[33:34]
	v_fma_f64 v[10:11], v[18:19], -0.5, v[58:59]
	v_add_f64 v[12:13], v[24:25], -v[33:34]
	v_fma_f64 v[98:99], v[6:7], s[4:5], v[2:3]
	v_fma_f64 v[58:59], v[6:7], s[0:1], v[2:3]
	v_add_f64 v[76:77], v[4:5], v[29:30]
	v_add_f64 v[2:3], v[35:36], v[41:42]
	;; [unrolled: 1-line block ×3, first 2 shown]
	v_fma_f64 v[96:97], v[16:17], s[0:1], v[8:9]
	v_fma_f64 v[56:57], v[16:17], s[4:5], v[8:9]
	v_fma_f64 v[0:1], v[0:1], -0.5, v[60:61]
	v_add_f64 v[8:9], v[31:32], -v[29:30]
	v_fma_f64 v[84:85], v[12:13], s[0:1], v[10:11]
	v_fma_f64 v[88:89], v[12:13], s[4:5], v[10:11]
	v_add_f64 v[6:7], v[60:61], v[24:25]
	v_add_f64 v[10:11], v[62:63], v[35:36]
	v_fma_f64 v[2:3], v[2:3], -0.5, v[62:63]
	v_add_f64 v[12:13], v[37:38], -v[43:44]
	v_add_f64 v[14:15], v[64:65], v[37:38]
	v_fma_f64 v[4:5], v[4:5], -0.5, v[64:65]
	v_add_f64 v[16:17], v[35:36], -v[41:42]
	v_fma_f64 v[86:87], v[8:9], s[4:5], v[0:1]
	v_fma_f64 v[90:91], v[8:9], s[0:1], v[0:1]
	v_lshrrev_b32_e32 v0, 2, v220
	v_mul_u32_u24_e32 v0, 12, v0
	v_or_b32_e32 v0, v0, v45
	v_lshlrev_b32_e32 v235, 4, v0
	v_lshrrev_b32_e32 v0, 2, v28
	v_mul_u32_u24_e32 v0, 12, v0
	v_add_f64 v[78:79], v[6:7], v[33:34]
	v_add_f64 v[60:61], v[10:11], v[41:42]
	v_fma_f64 v[64:65], v[12:13], s[0:1], v[2:3]
	v_fma_f64 v[72:73], v[12:13], s[4:5], v[2:3]
	v_add_f64 v[62:63], v[14:15], v[43:44]
	v_fma_f64 v[66:67], v[16:17], s[4:5], v[4:5]
	v_fma_f64 v[74:75], v[16:17], s[0:1], v[4:5]
	v_or_b32_e32 v0, v0, v46
	v_lshlrev_b32_e32 v47, 4, v0
	v_lshrrev_b32_e32 v0, 2, v26
	v_mul_u32_u24_e32 v0, 12, v0
	v_or_b32_e32 v0, v0, v80
	v_lshlrev_b32_e32 v236, 4, v0
	v_lshrrev_b32_e32 v0, 2, v27
	v_mul_u32_u24_e32 v0, 12, v0
	v_or_b32_e32 v0, v0, v81
	s_movk_i32 s0, 0x6c
	v_lshlrev_b32_e32 v243, 4, v0
	v_cmp_gt_u16_e32 vcc, s0, v220
	ds_write_b128 v235, v[48:51]
	ds_write_b128 v235, v[52:55] offset:64
	ds_write_b128 v235, v[68:71] offset:128
	ds_write_b128 v47, v[92:95]
	ds_write_b128 v47, v[96:99] offset:64
	ds_write_b128 v47, v[56:59] offset:128
	;; [unrolled: 3-line block ×4, first 2 shown]
	s_waitcnt lgkmcnt(0)
	s_barrier
	s_and_saveexec_b64 s[0:1], vcc
	s_cbranch_execz .LBB0_3
; %bb.2:
	ds_read_b128 v[48:51], v255
	ds_read_b128 v[52:55], v255 offset:1728
	ds_read_b128 v[68:71], v255 offset:3456
	;; [unrolled: 1-line block ×12, first 2 shown]
.LBB0_3:
	s_or_b64 exec, exec, s[0:1]
	s_movk_i32 s0, 0xab
	v_mul_lo_u16_sdwa v0, v220, s0 dst_sel:DWORD dst_unused:UNUSED_PAD src0_sel:BYTE_0 src1_sel:DWORD
	v_lshrrev_b16_e32 v0, 11, v0
	buffer_store_dword v0, off, s[52:55], 0 offset:216 ; 4-byte Folded Spill
	v_mul_lo_u16_e32 v0, 12, v0
	v_sub_u16_e32 v0, v220, v0
	v_and_b32_e32 v2, 0xff, v0
	v_mov_b32_e32 v0, s14
	s_movk_i32 s0, 0xc0
	v_mov_b32_e32 v1, s15
	v_mad_u64_u32 v[0:1], s[0:1], v2, s0, v[0:1]
	buffer_store_dword v2, off, s[52:55], 0 offset:220 ; 4-byte Folded Spill
	global_load_dwordx4 v[128:131], v[0:1], off offset:208
	global_load_dwordx4 v[108:111], v[0:1], off offset:192
	;; [unrolled: 1-line block ×4, first 2 shown]
	s_mov_b32 s20, 0x4267c47c
	s_mov_b32 s21, 0xbfddbe06
	;; [unrolled: 1-line block ×24, first 2 shown]
	s_waitcnt vmcnt(0) lgkmcnt(11)
	v_mul_f64 v[2:3], v[54:55], v[6:7]
	v_fma_f64 v[122:123], v[52:53], v[4:5], -v[2:3]
	v_mul_f64 v[2:3], v[52:53], v[6:7]
	buffer_store_dword v4, off, s[52:55], 0 offset:276 ; 4-byte Folded Spill
	s_nop 0
	buffer_store_dword v5, off, s[52:55], 0 offset:280 ; 4-byte Folded Spill
	buffer_store_dword v6, off, s[52:55], 0 offset:284 ; 4-byte Folded Spill
	;; [unrolled: 1-line block ×3, first 2 shown]
	global_load_dwordx4 v[140:143], v[0:1], off offset:272
	global_load_dwordx4 v[152:155], v[0:1], off offset:256
	;; [unrolled: 1-line block ×8, first 2 shown]
	v_fma_f64 v[124:125], v[54:55], v[4:5], v[2:3]
	s_waitcnt lgkmcnt(10)
	v_mul_f64 v[2:3], v[70:71], v[102:103]
	s_waitcnt vmcnt(0) lgkmcnt(3)
	v_mul_f64 v[0:1], v[62:63], v[202:203]
	v_fma_f64 v[43:44], v[68:69], v[100:101], -v[2:3]
	v_mul_f64 v[2:3], v[68:69], v[102:103]
	v_fma_f64 v[120:121], v[70:71], v[100:101], v[2:3]
	v_mul_f64 v[2:3], v[94:95], v[110:111]
	v_fma_f64 v[39:40], v[92:93], v[108:109], -v[2:3]
	v_mul_f64 v[2:3], v[92:93], v[110:111]
	v_fma_f64 v[41:42], v[94:95], v[108:109], v[2:3]
	;; [unrolled: 4-line block ×5, first 2 shown]
	v_mul_f64 v[2:3], v[86:87], v[154:155]
	v_fma_f64 v[70:71], v[84:85], v[152:153], -v[2:3]
	v_mul_f64 v[2:3], v[84:85], v[154:155]
	v_add_f64 v[253:254], v[92:93], v[70:71]
	v_fma_f64 v[83:84], v[86:87], v[152:153], v[2:3]
	v_mul_f64 v[2:3], v[90:91], v[142:143]
	v_fma_f64 v[45:46], v[88:89], v[140:141], -v[2:3]
	v_mul_f64 v[2:3], v[88:89], v[142:143]
	v_add_f64 v[245:246], v[98:99], v[45:46]
	v_fma_f64 v[52:53], v[90:91], v[140:141], v[2:3]
	v_fma_f64 v[90:91], v[60:61], v[200:201], -v[0:1]
	v_mul_f64 v[0:1], v[60:61], v[202:203]
	v_add_f64 v[6:7], v[117:118], -v[52:53]
	v_add_f64 v[233:234], v[35:36], v[90:91]
	v_fma_f64 v[210:211], v[62:63], v[200:201], v[0:1]
	s_waitcnt lgkmcnt(2)
	v_mul_f64 v[0:1], v[66:67], v[138:139]
	v_add_f64 v[249:250], v[35:36], -v[90:91]
	v_add_f64 v[18:19], v[117:118], v[52:53]
	v_mul_f64 v[208:209], v[6:7], s[34:35]
	v_add_f64 v[251:252], v[37:38], -v[210:211]
	v_fma_f64 v[86:87], v[64:65], v[136:137], -v[0:1]
	v_mul_f64 v[0:1], v[64:65], v[138:139]
	v_add_f64 v[16:17], v[37:38], v[210:211]
	v_mul_f64 v[126:127], v[249:250], s[24:25]
	v_fma_f64 v[20:21], v[245:246], s[18:19], v[208:209]
	v_mul_f64 v[78:79], v[251:252], s[24:25]
	v_add_f64 v[216:217], v[39:40], v[86:87]
	v_fma_f64 v[88:89], v[66:67], v[136:137], v[0:1]
	s_waitcnt lgkmcnt(1)
	v_mul_f64 v[0:1], v[74:75], v[134:135]
	v_add_f64 v[237:238], v[39:40], -v[86:87]
	v_add_f64 v[239:240], v[41:42], -v[88:89]
	v_fma_f64 v[64:65], v[72:73], v[132:133], -v[0:1]
	v_mul_f64 v[0:1], v[72:73], v[134:135]
	v_add_f64 v[14:15], v[41:42], v[88:89]
	v_mul_f64 v[76:77], v[237:238], s[28:29]
	v_add_f64 v[225:226], v[43:44], -v[64:65]
	v_fma_f64 v[66:67], v[74:75], v[132:133], v[0:1]
	s_waitcnt lgkmcnt(0)
	v_mul_f64 v[0:1], v[114:115], v[106:107]
	v_mul_f64 v[74:75], v[239:240], s[28:29]
	;; [unrolled: 1-line block ×3, first 2 shown]
	v_add_f64 v[227:228], v[120:121], -v[66:67]
	v_fma_f64 v[60:61], v[112:113], v[104:105], -v[0:1]
	v_mul_f64 v[0:1], v[112:113], v[106:107]
	v_add_f64 v[112:113], v[43:44], v[64:65]
	v_add_f64 v[8:9], v[120:121], v[66:67]
	v_mul_f64 v[58:59], v[227:228], s[22:23]
	v_add_f64 v[72:73], v[122:123], v[60:61]
	v_fma_f64 v[62:63], v[114:115], v[104:105], v[0:1]
	v_add_f64 v[214:215], v[122:123], -v[60:61]
	v_fma_f64 v[4:5], v[112:113], s[4:5], v[58:59]
	v_add_f64 v[229:230], v[124:125], -v[62:63]
	v_add_f64 v[241:242], v[124:125], v[62:63]
	v_mul_f64 v[56:57], v[214:215], s[20:21]
	v_mul_f64 v[54:55], v[229:230], s[20:21]
	v_fma_f64 v[2:3], v[241:242], s[0:1], -v[56:57]
	v_fma_f64 v[0:1], v[72:73], s[0:1], v[54:55]
	v_add_f64 v[2:3], v[50:51], v[2:3]
	v_add_f64 v[0:1], v[48:49], v[0:1]
	;; [unrolled: 1-line block ×3, first 2 shown]
	v_fma_f64 v[4:5], v[8:9], s[4:5], -v[68:69]
	v_add_f64 v[2:3], v[4:5], v[2:3]
	v_fma_f64 v[4:5], v[216:217], s[6:7], v[74:75]
	v_add_f64 v[0:1], v[4:5], v[0:1]
	v_fma_f64 v[4:5], v[14:15], s[6:7], -v[76:77]
	v_add_f64 v[2:3], v[4:5], v[2:3]
	v_fma_f64 v[4:5], v[233:234], s[16:17], v[78:79]
	v_add_f64 v[10:11], v[4:5], v[0:1]
	v_add_f64 v[4:5], v[98:99], -v[45:46]
	v_fma_f64 v[0:1], v[16:17], s[16:17], -v[126:127]
	v_add_f64 v[29:30], v[20:21], v[10:11]
	v_mul_f64 v[114:115], v[4:5], s[34:35]
	v_add_f64 v[12:13], v[0:1], v[2:3]
	v_add_f64 v[20:21], v[96:97], v[83:84]
	v_fma_f64 v[10:11], v[18:19], s[18:19], -v[114:115]
	v_add_f64 v[31:32], v[10:11], v[12:13]
	v_add_f64 v[12:13], v[96:97], -v[83:84]
	v_add_f64 v[10:11], v[92:93], -v[70:71]
	v_mul_f64 v[22:23], v[12:13], s[30:31]
	v_mul_f64 v[24:25], v[10:11], s[30:31]
	v_fma_f64 v[33:34], v[253:254], s[26:27], v[22:23]
	v_add_f64 v[0:1], v[33:34], v[29:30]
	v_fma_f64 v[29:30], v[20:21], s[26:27], -v[24:25]
	v_add_f64 v[2:3], v[29:30], v[31:32]
	buffer_store_dword v0, off, s[52:55], 0 ; 4-byte Folded Spill
	s_nop 0
	buffer_store_dword v1, off, s[52:55], 0 offset:4 ; 4-byte Folded Spill
	buffer_store_dword v2, off, s[52:55], 0 offset:8 ; 4-byte Folded Spill
	;; [unrolled: 1-line block ×3, first 2 shown]
	s_waitcnt vmcnt(0)
	s_barrier
	s_and_saveexec_b64 s[36:37], vcc
	s_cbranch_execz .LBB0_5
; %bb.4:
	v_mul_f64 v[0:1], v[72:73], s[0:1]
	v_mul_f64 v[29:30], v[241:242], s[26:27]
	s_mov_b32 s41, 0x3fcea1e5
	s_mov_b32 s40, s30
	v_mul_f64 v[31:32], v[8:9], s[0:1]
	s_mov_b32 s39, 0x3fe5384d
	s_mov_b32 s38, s34
	;; [unrolled: 1-line block ×3, first 2 shown]
	buffer_store_dword v0, off, s[52:55], 0 offset:360 ; 4-byte Folded Spill
	s_nop 0
	buffer_store_dword v1, off, s[52:55], 0 offset:364 ; 4-byte Folded Spill
	v_mul_f64 v[0:1], v[241:242], s[0:1]
	v_fma_f64 v[33:34], v[214:215], s[40:41], v[29:30]
	v_fma_f64 v[29:30], v[214:215], s[30:31], v[29:30]
	s_mov_b32 s42, s20
	s_mov_b32 s49, 0x3fea55e2
	;; [unrolled: 1-line block ×3, first 2 shown]
	v_mul_f64 v[223:224], v[251:252], s[48:49]
	s_mov_b32 s47, 0x3fedeba7
	buffer_store_dword v0, off, s[52:55], 0 offset:376 ; 4-byte Folded Spill
	s_nop 0
	buffer_store_dword v1, off, s[52:55], 0 offset:380 ; 4-byte Folded Spill
	v_mul_f64 v[0:1], v[112:113], s[4:5]
	v_add_f64 v[33:34], v[50:51], v[33:34]
	v_add_f64 v[29:30], v[50:51], v[29:30]
	s_mov_b32 s46, s24
	s_mov_b32 s45, 0x3fefc445
	;; [unrolled: 1-line block ×3, first 2 shown]
	v_mul_f64 v[212:213], v[239:240], s[22:23]
	v_mov_b32_e32 v95, v69
	buffer_store_dword v0, off, s[52:55], 0 offset:344 ; 4-byte Folded Spill
	s_nop 0
	buffer_store_dword v1, off, s[52:55], 0 offset:348 ; 4-byte Folded Spill
	v_mul_f64 v[0:1], v[8:9], s[4:5]
	v_mov_b32_e32 v94, v68
	v_mul_f64 v[204:205], v[251:252], s[42:43]
	v_add_f64 v[122:123], v[48:49], v[122:123]
	v_add_f64 v[124:125], v[50:51], v[124:125]
	buffer_store_dword v0, off, s[52:55], 0 offset:368 ; 4-byte Folded Spill
	s_nop 0
	buffer_store_dword v1, off, s[52:55], 0 offset:372 ; 4-byte Folded Spill
	v_mul_f64 v[0:1], v[216:217], s[6:7]
	buffer_store_dword v0, off, s[52:55], 0 offset:336 ; 4-byte Folded Spill
	s_nop 0
	buffer_store_dword v1, off, s[52:55], 0 offset:340 ; 4-byte Folded Spill
	v_mul_f64 v[0:1], v[14:15], s[6:7]
	;; [unrolled: 4-line block ×5, first 2 shown]
	buffer_store_dword v0, off, s[52:55], 0 offset:304 ; 4-byte Folded Spill
	s_nop 0
	buffer_store_dword v1, off, s[52:55], 0 offset:308 ; 4-byte Folded Spill
	buffer_store_dword v35, off, s[52:55], 0 offset:384 ; 4-byte Folded Spill
	s_nop 0
	buffer_store_dword v36, off, s[52:55], 0 offset:388 ; 4-byte Folded Spill
	v_mul_f64 v[0:1], v[18:19], s[18:19]
	buffer_store_dword v37, off, s[52:55], 0 offset:392 ; 4-byte Folded Spill
	s_nop 0
	buffer_store_dword v38, off, s[52:55], 0 offset:396 ; 4-byte Folded Spill
	v_mul_f64 v[35:36], v[14:15], s[18:19]
	v_fma_f64 v[37:38], v[225:226], s[20:21], v[31:32]
	v_fma_f64 v[31:32], v[225:226], s[42:43], v[31:32]
	buffer_store_dword v0, off, s[52:55], 0 offset:320 ; 4-byte Folded Spill
	s_nop 0
	buffer_store_dword v1, off, s[52:55], 0 offset:324 ; 4-byte Folded Spill
	v_mul_f64 v[0:1], v[253:254], s[26:27]
	buffer_store_dword v0, off, s[52:55], 0 offset:296 ; 4-byte Folded Spill
	s_nop 0
	buffer_store_dword v1, off, s[52:55], 0 offset:300 ; 4-byte Folded Spill
	buffer_store_dword v39, off, s[52:55], 0 offset:408 ; 4-byte Folded Spill
	s_nop 0
	buffer_store_dword v40, off, s[52:55], 0 offset:412 ; 4-byte Folded Spill
	;; [unrolled: 3-line block ×5, first 2 shown]
	v_mul_f64 v[41:42], v[16:17], s[4:5]
	v_fma_f64 v[43:44], v[237:238], s[38:39], v[35:36]
	v_add_f64 v[33:34], v[37:38], v[33:34]
	v_mul_f64 v[52:53], v[229:230], s[30:31]
	buffer_store_dword v54, off, s[52:55], 0 offset:432 ; 4-byte Folded Spill
	s_nop 0
	buffer_store_dword v55, off, s[52:55], 0 offset:436 ; 4-byte Folded Spill
	buffer_store_dword v56, off, s[52:55], 0 offset:440 ; 4-byte Folded Spill
	s_nop 0
	buffer_store_dword v57, off, s[52:55], 0 offset:444 ; 4-byte Folded Spill
	;; [unrolled: 3-line block ×3, first 2 shown]
	v_mul_f64 v[58:59], v[239:240], s[34:35]
	v_fma_f64 v[54:55], v[249:250], s[22:23], v[41:42]
	v_fma_f64 v[35:36], v[237:238], s[34:35], v[35:36]
	v_add_f64 v[33:34], v[43:44], v[33:34]
	v_mul_f64 v[43:44], v[227:228], s[42:43]
	v_fma_f64 v[56:57], v[72:73], s[26:27], v[52:53]
	v_fma_f64 v[52:53], v[72:73], s[26:27], -v[52:53]
	v_add_f64 v[29:30], v[31:32], v[29:30]
	buffer_store_dword v45, off, s[52:55], 0 offset:456 ; 4-byte Folded Spill
	s_nop 0
	buffer_store_dword v46, off, s[52:55], 0 offset:460 ; 4-byte Folded Spill
	v_mul_f64 v[37:38], v[18:19], s[16:17]
	v_fma_f64 v[45:46], v[216:217], s[18:19], v[58:59]
	v_add_f64 v[33:34], v[54:55], v[33:34]
	v_fma_f64 v[54:55], v[112:113], s[0:1], v[43:44]
	v_add_f64 v[56:57], v[48:49], v[56:57]
	v_fma_f64 v[43:44], v[112:113], s[0:1], -v[43:44]
	v_add_f64 v[52:53], v[48:49], v[52:53]
	v_fma_f64 v[41:42], v[249:250], s[48:49], v[41:42]
	v_add_f64 v[29:30], v[35:36], v[29:30]
	v_mul_f64 v[39:40], v[20:21], s[6:7]
	v_fma_f64 v[221:222], v[4:5], s[46:47], v[37:38]
	v_mul_f64 v[31:32], v[6:7], s[24:25]
	v_add_f64 v[54:55], v[54:55], v[56:57]
	v_fma_f64 v[56:57], v[216:217], s[18:19], -v[58:59]
	v_add_f64 v[43:44], v[43:44], v[52:53]
	v_fma_f64 v[52:53], v[233:234], s[4:5], v[223:224]
	v_fma_f64 v[37:38], v[4:5], s[24:25], v[37:38]
	v_add_f64 v[29:30], v[41:42], v[29:30]
	v_mul_f64 v[35:36], v[12:13], s[44:45]
	v_fma_f64 v[41:42], v[10:11], s[28:29], v[39:40]
	v_add_f64 v[45:46], v[45:46], v[54:55]
	v_fma_f64 v[54:55], v[233:234], s[4:5], -v[223:224]
	v_add_f64 v[43:44], v[56:57], v[43:44]
	v_fma_f64 v[56:57], v[245:246], s[16:17], v[31:32]
	v_fma_f64 v[39:40], v[10:11], s[44:45], v[39:40]
	v_add_f64 v[29:30], v[37:38], v[29:30]
	v_add_f64 v[33:34], v[221:222], v[33:34]
	v_fma_f64 v[31:32], v[245:246], s[16:17], -v[31:32]
	v_add_f64 v[45:46], v[52:53], v[45:46]
	v_fma_f64 v[52:53], v[253:254], s[6:7], v[35:36]
	v_add_f64 v[43:44], v[54:55], v[43:44]
	v_mul_f64 v[37:38], v[241:242], s[18:19]
	v_fma_f64 v[35:36], v[253:254], s[6:7], -v[35:36]
	v_add_f64 v[58:59], v[39:40], v[29:30]
	v_mul_f64 v[29:30], v[229:230], s[34:35]
	v_add_f64 v[54:55], v[41:42], v[33:34]
	v_add_f64 v[45:46], v[56:57], v[45:46]
	v_mul_f64 v[33:34], v[8:9], s[6:7]
	v_add_f64 v[31:32], v[31:32], v[43:44]
	v_fma_f64 v[39:40], v[214:215], s[38:39], v[37:38]
	v_mul_f64 v[0:1], v[20:21], s[26:27]
	v_fma_f64 v[37:38], v[214:215], s[34:35], v[37:38]
	v_fma_f64 v[221:222], v[72:73], s[18:19], v[29:30]
	buffer_store_dword v0, off, s[52:55], 0 offset:464 ; 4-byte Folded Spill
	s_nop 0
	buffer_store_dword v1, off, s[52:55], 0 offset:468 ; 4-byte Folded Spill
	v_add_f64 v[52:53], v[52:53], v[45:46]
	v_mul_f64 v[45:46], v[227:228], s[44:45]
	v_add_f64 v[56:57], v[35:36], v[31:32]
	v_mul_f64 v[35:36], v[14:15], s[4:5]
	v_fma_f64 v[43:44], v[225:226], s[28:29], v[33:34]
	v_add_f64 v[39:40], v[50:51], v[39:40]
	v_add_f64 v[221:222], v[48:49], v[221:222]
	buffer_store_dword v74, off, s[52:55], 0 offset:480 ; 4-byte Folded Spill
	s_nop 0
	buffer_store_dword v75, off, s[52:55], 0 offset:484 ; 4-byte Folded Spill
	buffer_store_dword v114, off, s[52:55], 0 offset:472 ; 4-byte Folded Spill
	s_nop 0
	buffer_store_dword v115, off, s[52:55], 0 offset:476 ; 4-byte Folded Spill
	v_fma_f64 v[218:219], v[112:113], s[6:7], v[45:46]
	buffer_store_dword v117, off, s[52:55], 0 offset:496 ; 4-byte Folded Spill
	s_nop 0
	buffer_store_dword v118, off, s[52:55], 0 offset:500 ; 4-byte Folded Spill
	buffer_store_dword v70, off, s[52:55], 0 offset:488 ; 4-byte Folded Spill
	s_nop 0
	buffer_store_dword v71, off, s[52:55], 0 offset:492 ; 4-byte Folded Spill
	v_mul_f64 v[74:75], v[16:17], s[26:27]
	v_fma_f64 v[114:115], v[237:238], s[48:49], v[35:36]
	v_add_f64 v[39:40], v[43:44], v[39:40]
	v_fma_f64 v[33:34], v[225:226], s[44:45], v[33:34]
	v_add_f64 v[37:38], v[50:51], v[37:38]
	v_fma_f64 v[29:30], v[72:73], s[18:19], -v[29:30]
	v_mov_b32_e32 v118, v231
	v_mul_f64 v[231:232], v[251:252], s[40:41]
	v_mov_b32_e32 v70, v220
	v_mov_b32_e32 v220, v47
	v_mov_b32_e32 v47, v235
	v_mov_b32_e32 v71, v236
	v_fma_f64 v[235:236], v[216:217], s[4:5], v[212:213]
	v_add_f64 v[218:219], v[218:219], v[221:222]
	v_mul_f64 v[41:42], v[18:19], s[0:1]
	v_fma_f64 v[43:44], v[249:250], s[30:31], v[74:75]
	v_add_f64 v[39:40], v[114:115], v[39:40]
	v_fma_f64 v[35:36], v[237:238], s[22:23], v[35:36]
	v_add_f64 v[33:34], v[33:34], v[37:38]
	v_fma_f64 v[37:38], v[112:113], s[6:7], -v[45:46]
	v_add_f64 v[29:30], v[48:49], v[29:30]
	v_mul_f64 v[45:46], v[6:7], s[42:43]
	v_fma_f64 v[114:115], v[233:234], s[26:27], v[231:232]
	v_add_f64 v[218:219], v[235:236], v[218:219]
	v_fma_f64 v[223:224], v[4:5], s[20:21], v[41:42]
	v_add_f64 v[39:40], v[43:44], v[39:40]
	;; [unrolled: 2-line block ×3, first 2 shown]
	v_fma_f64 v[35:36], v[216:217], s[4:5], -v[212:213]
	v_add_f64 v[29:30], v[37:38], v[29:30]
	v_mul_f64 v[37:38], v[12:13], s[24:25]
	v_fma_f64 v[74:75], v[245:246], s[0:1], v[45:46]
	v_add_f64 v[114:115], v[114:115], v[218:219]
	v_mul_f64 v[31:32], v[20:21], s[16:17]
	v_fma_f64 v[41:42], v[4:5], s[42:43], v[41:42]
	v_add_f64 v[33:34], v[43:44], v[33:34]
	v_fma_f64 v[43:44], v[233:234], s[26:27], -v[231:232]
	v_add_f64 v[29:30], v[35:36], v[29:30]
	v_add_f64 v[35:36], v[223:224], v[39:40]
	v_fma_f64 v[39:40], v[253:254], s[16:17], v[37:38]
	v_add_f64 v[74:75], v[74:75], v[114:115]
	v_mul_f64 v[218:219], v[241:242], s[16:17]
	v_fma_f64 v[212:213], v[10:11], s[46:47], v[31:32]
	v_fma_f64 v[114:115], v[10:11], s[24:25], v[31:32]
	v_add_f64 v[33:34], v[41:42], v[33:34]
	v_fma_f64 v[41:42], v[245:246], s[0:1], -v[45:46]
	v_add_f64 v[43:44], v[43:44], v[29:30]
	v_mul_f64 v[45:46], v[229:230], s[24:25]
	v_add_f64 v[29:30], v[39:40], v[74:75]
	v_mul_f64 v[39:40], v[8:9], s[18:19]
	v_fma_f64 v[74:75], v[214:215], s[46:47], v[218:219]
	v_add_f64 v[31:32], v[212:213], v[35:36]
	v_add_f64 v[35:36], v[114:115], v[33:34]
	v_fma_f64 v[33:34], v[253:254], s[16:17], -v[37:38]
	v_add_f64 v[37:38], v[41:42], v[43:44]
	v_mul_f64 v[41:42], v[227:228], s[38:39]
	v_fma_f64 v[43:44], v[72:73], s[16:17], v[45:46]
	v_mul_f64 v[114:115], v[14:15], s[0:1]
	v_fma_f64 v[212:213], v[225:226], s[34:35], v[39:40]
	v_add_f64 v[74:75], v[50:51], v[74:75]
	buffer_store_dword v76, off, s[52:55], 0 offset:512 ; 4-byte Folded Spill
	s_nop 0
	buffer_store_dword v77, off, s[52:55], 0 offset:516 ; 4-byte Folded Spill
	buffer_store_dword v78, off, s[52:55], 0 offset:504 ; 4-byte Folded Spill
	s_nop 0
	buffer_store_dword v79, off, s[52:55], 0 offset:508 ; 4-byte Folded Spill
	v_mov_b32_e32 v76, v140
	v_mov_b32_e32 v77, v141
	v_mov_b32_e32 v78, v142
	v_mov_b32_e32 v79, v143
	v_mov_b32_e32 v140, v139
	v_mov_b32_e32 v139, v138
	v_mov_b32_e32 v138, v137
	v_mov_b32_e32 v137, v136
	v_mov_b32_e32 v136, v135
	buffer_store_dword v83, off, s[52:55], 0 offset:520 ; 4-byte Folded Spill
	s_nop 0
	buffer_store_dword v84, off, s[52:55], 0 offset:524 ; 4-byte Folded Spill
	v_mov_b32_e32 v135, v134
	v_mov_b32_e32 v134, v133
	;; [unrolled: 1-line block ×5, first 2 shown]
	v_mul_f64 v[231:232], v[239:240], s[42:43]
	v_fma_f64 v[235:236], v[112:113], s[18:19], v[41:42]
	v_add_f64 v[43:44], v[48:49], v[43:44]
	v_mov_b32_e32 v131, v130
	v_mov_b32_e32 v130, v129
	;; [unrolled: 1-line block ×6, first 2 shown]
	v_mul_f64 v[243:244], v[16:17], s[6:7]
	v_mov_b32_e32 v85, v93
	v_mov_b32_e32 v92, v247
	;; [unrolled: 1-line block ×3, first 2 shown]
	v_fma_f64 v[247:248], v[237:238], s[20:21], v[114:115]
	v_add_f64 v[74:75], v[212:213], v[74:75]
	v_mul_f64 v[221:222], v[18:19], s[26:27]
	v_mul_f64 v[0:1], v[251:252], s[28:29]
	v_fma_f64 v[2:3], v[216:217], s[0:1], v[231:232]
	v_fma_f64 v[218:219], v[214:215], s[24:25], v[218:219]
	v_add_f64 v[43:44], v[235:236], v[43:44]
	v_fma_f64 v[235:236], v[249:250], s[44:45], v[243:244]
	v_fma_f64 v[45:46], v[72:73], s[16:17], -v[45:46]
	v_add_f64 v[74:75], v[247:248], v[74:75]
	v_mul_f64 v[223:224], v[20:21], s[4:5]
	v_fma_f64 v[212:213], v[4:5], s[30:31], v[221:222]
	v_mul_f64 v[247:248], v[6:7], s[40:41]
	v_fma_f64 v[80:81], v[233:234], s[6:7], v[0:1]
	v_fma_f64 v[39:40], v[225:226], s[38:39], v[39:40]
	buffer_store_dword v82, off, s[52:55], 0 offset:292 ; 4-byte Folded Spill
	v_add_f64 v[82:83], v[50:51], v[218:219]
	v_add_f64 v[2:3], v[2:3], v[43:44]
	v_fma_f64 v[41:42], v[112:113], s[18:19], -v[41:42]
	v_add_f64 v[43:44], v[48:49], v[45:46]
	v_add_f64 v[45:46], v[235:236], v[74:75]
	v_mul_f64 v[74:75], v[12:13], s[48:49]
	v_fma_f64 v[218:219], v[245:246], s[26:27], v[247:248]
	v_fma_f64 v[114:115], v[237:238], s[42:43], v[114:115]
	v_add_f64 v[39:40], v[39:40], v[82:83]
	v_add_f64 v[2:3], v[80:81], v[2:3]
	v_fma_f64 v[80:81], v[216:217], s[0:1], -v[231:232]
	v_add_f64 v[41:42], v[41:42], v[43:44]
	v_fma_f64 v[43:44], v[10:11], s[22:23], v[223:224]
	v_add_f64 v[45:46], v[212:213], v[45:46]
	v_fma_f64 v[82:83], v[253:254], s[4:5], v[74:75]
	v_fma_f64 v[212:213], v[249:250], s[28:29], v[243:244]
	v_add_f64 v[114:115], v[114:115], v[39:40]
	v_add_f64 v[2:3], v[218:219], v[2:3]
	v_fma_f64 v[0:1], v[233:234], s[6:7], -v[0:1]
	v_add_f64 v[41:42], v[80:81], v[41:42]
	v_add_f64 v[33:34], v[33:34], v[37:38]
	;; [unrolled: 1-line block ×3, first 2 shown]
	v_mul_f64 v[45:46], v[241:242], s[6:7]
	v_fma_f64 v[43:44], v[4:5], s[40:41], v[221:222]
	v_add_f64 v[80:81], v[212:213], v[114:115]
	v_add_f64 v[37:38], v[82:83], v[2:3]
	v_fma_f64 v[2:3], v[245:246], s[26:27], -v[247:248]
	v_add_f64 v[0:1], v[0:1], v[41:42]
	v_mul_f64 v[41:42], v[8:9], s[26:27]
	v_mul_f64 v[231:232], v[16:17], s[0:1]
	v_fma_f64 v[212:213], v[214:215], s[44:45], v[45:46]
	v_mul_f64 v[114:115], v[229:230], s[28:29]
	v_add_f64 v[43:44], v[43:44], v[80:81]
	v_mul_f64 v[80:81], v[14:15], s[16:17]
	v_mul_f64 v[218:219], v[227:228], s[30:31]
	v_add_f64 v[0:1], v[2:3], v[0:1]
	v_fma_f64 v[2:3], v[225:226], s[40:41], v[41:42]
	v_fma_f64 v[68:69], v[249:250], s[20:21], v[231:232]
	v_add_f64 v[212:213], v[50:51], v[212:213]
	v_fma_f64 v[221:222], v[72:73], s[6:7], v[114:115]
	v_fma_f64 v[45:46], v[214:215], s[28:29], v[45:46]
	;; [unrolled: 1-line block ×3, first 2 shown]
	v_mul_f64 v[243:244], v[239:240], s[46:47]
	v_fma_f64 v[247:248], v[112:113], s[26:27], v[218:219]
	v_fma_f64 v[41:42], v[225:226], s[30:31], v[41:42]
	v_fma_f64 v[114:115], v[72:73], s[6:7], -v[114:115]
	v_add_f64 v[2:3], v[2:3], v[212:213]
	v_mul_f64 v[212:213], v[18:19], s[4:5]
	v_add_f64 v[221:222], v[48:49], v[221:222]
	v_add_f64 v[45:46], v[50:51], v[45:46]
	v_fma_f64 v[206:207], v[216:217], s[16:17], v[243:244]
	v_fma_f64 v[80:81], v[237:238], s[46:47], v[80:81]
	;; [unrolled: 1-line block ×3, first 2 shown]
	v_mul_f64 v[223:224], v[20:21], s[18:19]
	v_add_f64 v[2:3], v[235:236], v[2:3]
	v_fma_f64 v[235:236], v[4:5], s[48:49], v[212:213]
	v_add_f64 v[221:222], v[247:248], v[221:222]
	v_add_f64 v[41:42], v[41:42], v[45:46]
	v_mul_f64 v[247:248], v[6:7], s[22:23]
	v_fma_f64 v[45:46], v[233:234], s[0:1], v[204:205]
	v_add_f64 v[114:115], v[48:49], v[114:115]
	v_fma_f64 v[74:75], v[253:254], s[4:5], -v[74:75]
	v_add_f64 v[2:3], v[68:69], v[2:3]
	v_fma_f64 v[68:69], v[112:113], s[26:27], -v[218:219]
	v_add_f64 v[206:207], v[206:207], v[221:222]
	v_fma_f64 v[221:222], v[249:250], s[42:43], v[231:232]
	v_add_f64 v[41:42], v[80:81], v[41:42]
	v_fma_f64 v[80:81], v[245:246], s[4:5], v[247:248]
	v_fma_f64 v[231:232], v[216:217], s[16:17], -v[243:244]
	v_mul_f64 v[14:15], v[14:15], s[26:27]
	v_add_f64 v[2:3], v[235:236], v[2:3]
	v_mov_b32_e32 v236, v71
	v_mov_b32_e32 v235, v47
	;; [unrolled: 1-line block ×4, first 2 shown]
	buffer_load_dword v70, off, s[52:55], 0 offset:424 ; 4-byte Folded Reload
	buffer_load_dword v71, off, s[52:55], 0 offset:428 ; 4-byte Folded Reload
	v_add_f64 v[45:46], v[45:46], v[206:207]
	v_fma_f64 v[206:207], v[10:11], s[38:39], v[223:224]
	v_add_f64 v[68:69], v[68:69], v[114:115]
	v_fma_f64 v[114:115], v[4:5], s[22:23], v[212:213]
	v_add_f64 v[212:213], v[221:222], v[41:42]
	v_add_f64 v[41:42], v[74:75], v[0:1]
	v_fma_f64 v[0:1], v[10:11], s[34:35], v[223:224]
	v_mul_f64 v[218:219], v[12:13], s[34:35]
	v_add_f64 v[45:46], v[80:81], v[45:46]
	v_fma_f64 v[80:81], v[233:234], s[0:1], -v[204:205]
	v_add_f64 v[68:69], v[231:232], v[68:69]
	v_add_f64 v[223:224], v[206:207], v[2:3]
	;; [unrolled: 1-line block ×3, first 2 shown]
	v_mul_f64 v[2:3], v[241:242], s[4:5]
	v_fma_f64 v[212:213], v[237:238], s[40:41], v[14:15]
	v_fma_f64 v[14:15], v[237:238], s[30:31], v[14:15]
	v_mov_b32_e32 v231, v118
	v_mul_f64 v[204:205], v[229:230], s[22:23]
	v_add_f64 v[68:69], v[80:81], v[68:69]
	v_mul_f64 v[80:81], v[18:19], s[6:7]
	v_add_f64 v[18:19], v[0:1], v[74:75]
	v_mul_f64 v[0:1], v[8:9], s[16:17]
	v_fma_f64 v[8:9], v[214:215], s[48:49], v[2:3]
	v_fma_f64 v[2:3], v[214:215], s[22:23], v[2:3]
	;; [unrolled: 1-line block ×3, first 2 shown]
	v_fma_f64 v[74:75], v[253:254], s[18:19], -v[218:219]
	v_mul_f64 v[16:17], v[16:17], s[18:19]
	v_mul_f64 v[214:215], v[227:228], s[24:25]
	v_fma_f64 v[218:219], v[72:73], s[4:5], v[204:205]
	v_fma_f64 v[114:115], v[225:226], s[46:47], v[0:1]
	;; [unrolled: 1-line block ×3, first 2 shown]
	v_add_f64 v[2:3], v[50:51], v[2:3]
	v_add_f64 v[8:9], v[50:51], v[8:9]
	v_mov_b32_e32 v244, v117
	v_fma_f64 v[206:207], v[249:250], s[34:35], v[16:17]
	v_mov_b32_e32 v243, v116
	v_add_f64 v[43:44], v[82:83], v[43:44]
	v_add_f64 v[221:222], v[221:222], v[45:46]
	v_fma_f64 v[45:46], v[245:246], s[4:5], -v[247:248]
	v_add_f64 v[0:1], v[0:1], v[2:3]
	buffer_load_dword v2, off, s[52:55], 0 offset:416 ; 4-byte Folded Reload
	buffer_load_dword v3, off, s[52:55], 0 offset:420 ; 4-byte Folded Reload
	v_add_f64 v[8:9], v[114:115], v[8:9]
	v_add_f64 v[114:115], v[124:125], v[120:121]
	v_mul_f64 v[120:121], v[239:240], s[30:31]
	v_add_f64 v[124:125], v[48:49], v[218:219]
	v_mov_b32_e32 v248, v93
	v_mov_b32_e32 v247, v92
	v_add_f64 v[0:1], v[14:15], v[0:1]
	v_fma_f64 v[82:83], v[4:5], s[28:29], v[80:81]
	v_add_f64 v[8:9], v[212:213], v[8:9]
	v_mul_f64 v[20:21], v[20:21], s[0:1]
	v_fma_f64 v[116:117], v[216:217], s[26:27], v[120:121]
	v_fma_f64 v[16:17], v[249:250], s[38:39], v[16:17]
	v_add_f64 v[45:46], v[45:46], v[68:69]
	v_fma_f64 v[4:5], v[4:5], s[44:45], v[80:81]
	v_mul_f64 v[6:7], v[6:7], s[44:45]
	v_mul_f64 v[12:13], v[12:13], s[42:43]
	v_add_f64 v[8:9], v[206:207], v[8:9]
	v_fma_f64 v[68:69], v[10:11], s[20:21], v[20:21]
	v_fma_f64 v[10:11], v[10:11], s[42:43], v[20:21]
	v_add_f64 v[0:1], v[16:17], v[0:1]
	v_add_f64 v[82:83], v[82:83], v[8:9]
	;; [unrolled: 1-line block ×3, first 2 shown]
	s_waitcnt vmcnt(2)
	v_add_f64 v[118:119], v[122:123], v[70:71]
	buffer_load_dword v70, off, s[52:55], 0 offset:408 ; 4-byte Folded Reload
	buffer_load_dword v71, off, s[52:55], 0 offset:412 ; 4-byte Folded Reload
	;; [unrolled: 1-line block ×4, first 2 shown]
	v_fma_f64 v[122:123], v[112:113], s[16:17], v[214:215]
	s_waitcnt vmcnt(4)
	v_add_f64 v[2:3], v[114:115], v[2:3]
	v_mul_f64 v[114:115], v[251:252], s[38:39]
	s_waitcnt vmcnt(2)
	v_add_f64 v[92:93], v[118:119], v[70:71]
	s_waitcnt vmcnt(0)
	v_add_f64 v[2:3], v[2:3], v[14:15]
	buffer_load_dword v14, off, s[52:55], 0 offset:384 ; 4-byte Folded Reload
	buffer_load_dword v15, off, s[52:55], 0 offset:388 ; 4-byte Folded Reload
	v_add_f64 v[118:119], v[122:123], v[124:125]
	v_fma_f64 v[70:71], v[233:234], s[18:19], v[114:115]
	buffer_load_dword v8, off, s[52:55], 0 offset:496 ; 4-byte Folded Reload
	buffer_load_dword v9, off, s[52:55], 0 offset:500 ; 4-byte Folded Reload
	s_waitcnt vmcnt(2)
	v_add_f64 v[14:15], v[92:93], v[14:15]
	v_add_f64 v[92:93], v[116:117], v[118:119]
	v_mov_b32_e32 v116, v128
	s_waitcnt vmcnt(0)
	v_add_f64 v[2:3], v[2:3], v[8:9]
	v_mov_b32_e32 v128, v129
	v_mov_b32_e32 v129, v130
	;; [unrolled: 1-line block ×4, first 2 shown]
	v_add_f64 v[8:9], v[14:15], v[98:99]
	v_add_f64 v[16:17], v[70:71], v[92:93]
	buffer_load_dword v20, off, s[52:55], 0 offset:376 ; 4-byte Folded Reload
	buffer_load_dword v21, off, s[52:55], 0 offset:380 ; 4-byte Folded Reload
	;; [unrolled: 1-line block ×4, first 2 shown]
	v_mov_b32_e32 v132, v133
	v_mov_b32_e32 v133, v134
	;; [unrolled: 1-line block ×12, first 2 shown]
	v_add_f64 v[4:5], v[8:9], v[84:85]
	v_add_f64 v[2:3], v[2:3], v[96:97]
	v_fma_f64 v[14:15], v[245:246], s[6:7], v[6:7]
	v_fma_f64 v[6:7], v[245:246], s[6:7], -v[6:7]
	s_waitcnt vmcnt(0)
	v_add_f64 v[20:21], v[70:71], v[20:21]
	buffer_load_dword v8, off, s[52:55], 0 offset:360 ; 4-byte Folded Reload
	buffer_load_dword v9, off, s[52:55], 0 offset:364 ; 4-byte Folded Reload
	;; [unrolled: 1-line block ×6, first 2 shown]
	v_add_f64 v[20:21], v[50:51], v[20:21]
	s_waitcnt vmcnt(2)
	v_add_f64 v[8:9], v[8:9], -v[70:71]
	s_waitcnt vmcnt(0)
	v_add_f64 v[80:81], v[94:95], v[76:77]
	buffer_load_dword v50, off, s[52:55], 0 offset:344 ; 4-byte Folded Reload
	buffer_load_dword v51, off, s[52:55], 0 offset:348 ; 4-byte Folded Reload
	;; [unrolled: 1-line block ×4, first 2 shown]
	v_fma_f64 v[70:71], v[72:73], s[4:5], -v[204:205]
	v_fma_f64 v[72:73], v[112:113], s[16:17], -v[214:215]
	v_add_f64 v[8:9], v[48:49], v[8:9]
	v_add_f64 v[20:21], v[80:81], v[20:21]
	;; [unrolled: 1-line block ×3, first 2 shown]
	v_fma_f64 v[70:71], v[216:217], s[26:27], -v[120:121]
	v_add_f64 v[48:49], v[72:73], v[48:49]
	v_add_f64 v[48:49], v[70:71], v[48:49]
	s_waitcnt vmcnt(0)
	v_add_f64 v[50:51], v[50:51], -v[76:77]
	buffer_load_dword v76, off, s[52:55], 0 offset:520 ; 4-byte Folded Reload
	buffer_load_dword v77, off, s[52:55], 0 offset:524 ; 4-byte Folded Reload
	v_add_f64 v[8:9], v[50:51], v[8:9]
	v_fma_f64 v[50:51], v[233:234], s[18:19], -v[114:115]
	v_add_f64 v[48:49], v[50:51], v[48:49]
	v_fma_f64 v[50:51], v[253:254], s[0:1], -v[12:13]
	v_fma_f64 v[12:13], v[253:254], s[0:1], v[12:13]
	v_add_f64 v[48:49], v[6:7], v[48:49]
	s_waitcnt vmcnt(0)
	v_add_f64 v[2:3], v[2:3], v[76:77]
	buffer_load_dword v76, off, s[52:55], 0 offset:488 ; 4-byte Folded Reload
	buffer_load_dword v77, off, s[52:55], 0 offset:492 ; 4-byte Folded Reload
	s_waitcnt vmcnt(0)
	v_add_f64 v[4:5], v[4:5], v[76:77]
	buffer_load_dword v76, off, s[52:55], 0 offset:352 ; 4-byte Folded Reload
	buffer_load_dword v77, off, s[52:55], 0 offset:356 ; 4-byte Folded Reload
	;; [unrolled: 1-line block ×4, first 2 shown]
	s_waitcnt vmcnt(0)
	v_add_f64 v[84:85], v[78:79], v[76:77]
	buffer_load_dword v76, off, s[52:55], 0 offset:336 ; 4-byte Folded Reload
	buffer_load_dword v77, off, s[52:55], 0 offset:340 ; 4-byte Folded Reload
	;; [unrolled: 1-line block ×4, first 2 shown]
	v_add_f64 v[20:21], v[84:85], v[20:21]
	s_waitcnt vmcnt(0)
	v_add_f64 v[80:81], v[76:77], -v[78:79]
	buffer_load_dword v76, off, s[52:55], 0 offset:400 ; 4-byte Folded Reload
	buffer_load_dword v77, off, s[52:55], 0 offset:404 ; 4-byte Folded Reload
	v_add_f64 v[8:9], v[80:81], v[8:9]
	s_waitcnt vmcnt(0)
	v_add_f64 v[2:3], v[2:3], v[76:77]
	buffer_load_dword v76, off, s[52:55], 0 offset:456 ; 4-byte Folded Reload
	buffer_load_dword v77, off, s[52:55], 0 offset:460 ; 4-byte Folded Reload
	;; [unrolled: 1-line block ×4, first 2 shown]
	v_add_f64 v[2:3], v[2:3], v[210:211]
	v_add_f64 v[2:3], v[2:3], v[88:89]
	;; [unrolled: 1-line block ×6, first 2 shown]
	s_waitcnt vmcnt(2)
	v_add_f64 v[4:5], v[4:5], v[76:77]
	buffer_load_dword v76, off, s[52:55], 0 offset:312 ; 4-byte Folded Reload
	buffer_load_dword v77, off, s[52:55], 0 offset:316 ; 4-byte Folded Reload
	;; [unrolled: 1-line block ×4, first 2 shown]
	s_waitcnt vmcnt(4)
	v_add_f64 v[72:73], v[126:127], v[72:73]
	v_add_f64 v[4:5], v[4:5], v[90:91]
	;; [unrolled: 1-line block ×5, first 2 shown]
	s_waitcnt vmcnt(0)
	v_add_f64 v[76:77], v[76:77], -v[78:79]
	buffer_load_dword v70, off, s[52:55], 0 offset:320 ; 4-byte Folded Reload
	buffer_load_dword v71, off, s[52:55], 0 offset:324 ; 4-byte Folded Reload
	;; [unrolled: 1-line block ×6, first 2 shown]
	v_add_f64 v[8:9], v[76:77], v[8:9]
	buffer_load_dword v76, off, s[52:55], 0 offset:464 ; 4-byte Folded Reload
	buffer_load_dword v77, off, s[52:55], 0 offset:468 ; 4-byte Folded Reload
	s_waitcnt vmcnt(4)
	v_add_f64 v[70:71], v[78:79], v[70:71]
	s_waitcnt vmcnt(2)
	v_add_f64 v[72:73], v[72:73], -v[208:209]
	v_add_f64 v[20:21], v[70:71], v[20:21]
	buffer_load_dword v70, off, s[52:55], 0 offset:296 ; 4-byte Folded Reload
	buffer_load_dword v71, off, s[52:55], 0 offset:300 ; 4-byte Folded Reload
	s_waitcnt vmcnt(2)
	v_add_f64 v[24:25], v[24:25], v[76:77]
	v_add_f64 v[64:65], v[72:73], v[8:9]
	;; [unrolled: 1-line block ×4, first 2 shown]
	buffer_load_dword v20, off, s[52:55], 0 offset:216 ; 4-byte Folded Reload
	buffer_load_dword v21, off, s[52:55], 0 offset:220 ; 4-byte Folded Reload
	s_waitcnt vmcnt(2)
	v_add_f64 v[22:23], v[70:71], -v[22:23]
	v_add_f64 v[70:71], v[14:15], v[16:17]
	v_add_f64 v[14:15], v[68:69], v[82:83]
	buffer_load_dword v82, off, s[52:55], 0 offset:292 ; 4-byte Folded Reload
	v_add_f64 v[16:17], v[74:75], v[45:46]
	v_add_f64 v[4:5], v[22:23], v[64:65]
	;; [unrolled: 1-line block ×3, first 2 shown]
	s_waitcnt vmcnt(2)
	v_mul_u32_u24_e32 v20, 0x9c, v20
	s_waitcnt vmcnt(1)
	v_add_lshl_u32 v20, v20, v21, 4
	ds_write_b128 v20, v[8:11]
	ds_write_b128 v20, v[4:7] offset:192
	ds_write_b128 v20, v[0:3] offset:384
	ds_write_b128 v20, v[16:19] offset:576
	ds_write_b128 v20, v[41:44] offset:768
	ds_write_b128 v20, v[33:36] offset:960
	ds_write_b128 v20, v[56:59] offset:1152
	ds_write_b128 v20, v[52:55] offset:1344
	ds_write_b128 v20, v[29:32] offset:1536
	ds_write_b128 v20, v[37:40] offset:1728
	ds_write_b128 v20, v[221:224] offset:1920
	ds_write_b128 v20, v[12:15] offset:2112
	buffer_load_dword v0, off, s[52:55], 0  ; 4-byte Folded Reload
	buffer_load_dword v1, off, s[52:55], 0 offset:4 ; 4-byte Folded Reload
	buffer_load_dword v2, off, s[52:55], 0 offset:8 ; 4-byte Folded Reload
	;; [unrolled: 1-line block ×3, first 2 shown]
	s_waitcnt vmcnt(0)
	ds_write_b128 v20, v[0:3] offset:2304
.LBB0_5:
	s_or_b64 exec, exec, s[36:37]
	v_lshlrev_b32_e32 v0, 4, v220
	v_add_co_u32_e64 v5, s[0:1], s12, v0
	v_mov_b32_e32 v0, s13
	v_addc_co_u32_e64 v6, s[0:1], 0, v0, s[0:1]
	s_waitcnt lgkmcnt(0)
	s_barrier
	ds_read_b128 v[10:13], v255
	ds_read_b128 v[0:3], v255 offset:7488
	ds_read_b128 v[14:17], v255 offset:14976
	;; [unrolled: 1-line block ×11, first 2 shown]
	global_load_dwordx4 v[48:51], v82, s[14:15] offset:2480
	global_load_dwordx4 v[52:55], v82, s[14:15] offset:2464
	v_add_co_u32_e64 v8, s[0:1], s14, v82
	v_mov_b32_e32 v7, s15
	v_addc_co_u32_e64 v9, s[0:1], 0, v7, s[0:1]
	s_movk_i32 s0, 0xffd9
	s_mov_b32 s4, 0xe8584caa
	s_mov_b32 s5, 0x3febb67a
	;; [unrolled: 1-line block ×4, first 2 shown]
	s_movk_i32 s12, 0x1d4
	s_movk_i32 s13, 0x1000
	s_waitcnt vmcnt(0) lgkmcnt(10)
	v_mul_f64 v[45:46], v[2:3], v[54:55]
	v_fma_f64 v[45:46], v[0:1], v[52:53], -v[45:46]
	v_mul_f64 v[0:1], v[0:1], v[54:55]
	v_fma_f64 v[80:81], v[2:3], v[52:53], v[0:1]
	s_waitcnt lgkmcnt(9)
	v_mul_f64 v[0:1], v[16:17], v[50:51]
	v_fma_f64 v[82:83], v[14:15], v[48:49], -v[0:1]
	v_mul_f64 v[0:1], v[14:15], v[50:51]
	v_fma_f64 v[96:97], v[16:17], v[48:49], v[0:1]
	v_add_co_u32_e64 v0, s[0:1], s0, v220
	v_addc_co_u32_e64 v1, s[0:1], 0, -1, s[0:1]
	v_cmp_gt_u16_e64 s[0:1], 39, v220
	v_cndmask_b32_e64 v1, v1, v116, s[0:1]
	v_cndmask_b32_e64 v0, v0, v28, s[0:1]
	v_lshlrev_b64 v[1:2], 5, v[0:1]
	v_add_f64 v[16:17], v[45:46], v[82:83]
	v_add_co_u32_e64 v1, s[0:1], s14, v1
	v_addc_co_u32_e64 v2, s[0:1], v7, v2, s[0:1]
	global_load_dwordx4 v[56:59], v[1:2], off offset:2480
	global_load_dwordx4 v[60:63], v[1:2], off offset:2464
	v_fma_f64 v[16:17], v[16:17], -0.5, v[10:11]
	s_waitcnt vmcnt(0) lgkmcnt(7)
	v_mul_f64 v[1:2], v[20:21], v[62:63]
	v_fma_f64 v[98:99], v[18:19], v[60:61], -v[1:2]
	v_mul_f64 v[1:2], v[18:19], v[62:63]
	v_add_f64 v[18:19], v[80:81], -v[96:97]
	v_fma_f64 v[112:113], v[20:21], v[60:61], v[1:2]
	s_waitcnt lgkmcnt(6)
	v_mul_f64 v[1:2], v[24:25], v[58:59]
	v_add_f64 v[20:21], v[80:81], v[96:97]
	v_fma_f64 v[114:115], v[22:23], v[56:57], -v[1:2]
	v_mul_f64 v[1:2], v[22:23], v[58:59]
	v_add_f64 v[22:23], v[45:46], -v[82:83]
	v_fma_f64 v[20:21], v[20:21], -0.5, v[12:13]
	v_fma_f64 v[116:117], v[24:25], v[56:57], v[1:2]
	v_lshrrev_b16_e32 v1, 2, v26
	v_mul_u32_u24_e32 v1, 0xd21, v1
	v_lshrrev_b32_e32 v1, 17, v1
	v_mul_lo_u16_e32 v2, 0x9c, v1
	v_sub_u16_e32 v3, v26, v2
	v_lshlrev_b16_e32 v2, 5, v3
	v_add_co_u32_e64 v14, s[0:1], s14, v2
	v_addc_co_u32_e64 v15, s[0:1], 0, v7, s[0:1]
	global_load_dwordx4 v[64:67], v[14:15], off offset:2480
	global_load_dwordx4 v[68:71], v[14:15], off offset:2464
	v_lshrrev_b16_e32 v2, 2, v27
	v_mul_u32_u24_e32 v2, 0xd21, v2
	v_lshrrev_b32_e32 v2, 17, v2
	v_mul_lo_u16_e32 v2, 0x9c, v2
	v_sub_u16_e32 v4, v27, v2
	v_lshlrev_b16_e32 v2, 5, v4
	v_add_f64 v[24:25], v[98:99], v[114:115]
	v_lshlrev_b32_e32 v4, 4, v4
	v_fma_f64 v[24:25], v[24:25], -0.5, v[92:93]
	s_waitcnt vmcnt(0) lgkmcnt(4)
	v_mul_f64 v[14:15], v[31:32], v[70:71]
	v_fma_f64 v[118:119], v[29:30], v[68:69], -v[14:15]
	v_mul_f64 v[14:15], v[29:30], v[70:71]
	v_add_f64 v[29:30], v[112:113], -v[116:117]
	v_fma_f64 v[120:121], v[31:32], v[68:69], v[14:15]
	s_waitcnt lgkmcnt(3)
	v_mul_f64 v[14:15], v[35:36], v[66:67]
	v_fma_f64 v[27:28], v[29:30], s[4:5], v[24:25]
	v_fma_f64 v[31:32], v[29:30], s[6:7], v[24:25]
	v_add_f64 v[29:30], v[112:113], v[116:117]
	v_add_f64 v[24:25], v[94:95], v[112:113]
	v_fma_f64 v[122:123], v[33:34], v[64:65], -v[14:15]
	v_mul_f64 v[14:15], v[33:34], v[66:67]
	v_fma_f64 v[33:34], v[29:30], -0.5, v[94:95]
	v_add_f64 v[24:25], v[24:25], v[116:117]
	v_fma_f64 v[124:125], v[35:36], v[64:65], v[14:15]
	v_add_co_u32_e64 v14, s[0:1], s14, v2
	v_addc_co_u32_e64 v15, s[0:1], 0, v7, s[0:1]
	global_load_dwordx4 v[72:75], v[14:15], off offset:2480
	global_load_dwordx4 v[76:79], v[14:15], off offset:2464
	v_add_f64 v[35:36], v[98:99], -v[114:115]
	v_cmp_lt_u16_e64 s[0:1], 38, v220
	v_mov_b32_e32 v2, 0x1d4
	v_cndmask_b32_e64 v2, 0, v2, s[0:1]
	v_add_lshl_u32 v2, v0, v2, 4
	v_mad_legacy_u16 v0, v1, s12, v3
	s_movk_i32 s12, 0x1d20
	v_lshlrev_b32_e32 v3, 4, v0
	v_fma_f64 v[29:30], v[35:36], s[6:7], v[33:34]
	v_fma_f64 v[33:34], v[35:36], s[4:5], v[33:34]
	v_add_f64 v[35:36], v[88:89], v[118:119]
	v_add_co_u32_e64 v0, s[0:1], s12, v8
	v_addc_co_u32_e64 v1, s[0:1], 0, v9, s[0:1]
	v_add_co_u32_e64 v8, s[0:1], s13, v8
	v_addc_co_u32_e64 v9, s[0:1], 0, v9, s[0:1]
	v_add_f64 v[35:36], v[35:36], v[122:123]
	s_waitcnt vmcnt(0) lgkmcnt(0)
	s_barrier
	v_mul_f64 v[14:15], v[39:40], v[78:79]
	v_fma_f64 v[126:127], v[37:38], v[76:77], -v[14:15]
	v_mul_f64 v[14:15], v[37:38], v[78:79]
	v_add_f64 v[37:38], v[118:119], v[122:123]
	v_fma_f64 v[204:205], v[39:40], v[76:77], v[14:15]
	v_mul_f64 v[14:15], v[43:44], v[74:75]
	v_fma_f64 v[37:38], v[37:38], -0.5, v[88:89]
	v_fma_f64 v[206:207], v[41:42], v[72:73], -v[14:15]
	v_mul_f64 v[14:15], v[41:42], v[74:75]
	v_add_f64 v[41:42], v[120:121], -v[124:125]
	v_fma_f64 v[43:44], v[43:44], v[72:73], v[14:15]
	v_fma_f64 v[39:40], v[41:42], s[4:5], v[37:38]
	;; [unrolled: 1-line block ×3, first 2 shown]
	v_add_f64 v[41:42], v[120:121], v[124:125]
	v_add_f64 v[14:15], v[10:11], v[45:46]
	v_fma_f64 v[10:11], v[18:19], s[4:5], v[16:17]
	v_fma_f64 v[18:19], v[18:19], s[6:7], v[16:17]
	v_add_f64 v[16:17], v[12:13], v[80:81]
	v_add_f64 v[80:81], v[118:119], -v[122:123]
	v_add_f64 v[37:38], v[90:91], v[120:121]
	v_fma_f64 v[12:13], v[22:23], s[6:7], v[20:21]
	v_fma_f64 v[45:46], v[41:42], -0.5, v[90:91]
	v_fma_f64 v[20:21], v[22:23], s[4:5], v[20:21]
	v_add_f64 v[22:23], v[92:93], v[98:99]
	v_add_f64 v[14:15], v[14:15], v[82:83]
	;; [unrolled: 1-line block ×3, first 2 shown]
	ds_write_b128 v255, v[14:17]
	ds_write_b128 v255, v[10:13] offset:2496
	ds_write_b128 v255, v[18:21] offset:4992
	v_fma_f64 v[41:42], v[80:81], s[6:7], v[45:46]
	v_fma_f64 v[90:91], v[80:81], s[4:5], v[45:46]
	v_add_f64 v[45:46], v[84:85], v[126:127]
	v_add_f64 v[80:81], v[204:205], -v[43:44]
	v_add_f64 v[22:23], v[22:23], v[114:115]
	v_add_f64 v[37:38], v[37:38], v[124:125]
	ds_write_b128 v2, v[22:25]
	ds_write_b128 v2, v[27:30] offset:2496
	ds_write_b128 v2, v[31:34] offset:4992
	v_add_f64 v[92:93], v[45:46], v[206:207]
	v_add_f64 v[45:46], v[126:127], v[206:207]
	ds_write_b128 v3, v[35:38]
	ds_write_b128 v3, v[39:42] offset:2496
	ds_write_b128 v3, v[88:91] offset:4992
	v_fma_f64 v[45:46], v[45:46], -0.5, v[84:85]
	v_fma_f64 v[84:85], v[80:81], s[4:5], v[45:46]
	v_fma_f64 v[96:97], v[80:81], s[6:7], v[45:46]
	v_add_f64 v[45:46], v[86:87], v[204:205]
	v_add_f64 v[94:95], v[45:46], v[43:44]
	;; [unrolled: 1-line block ×3, first 2 shown]
	v_add_f64 v[45:46], v[126:127], -v[206:207]
	v_fma_f64 v[43:44], v[43:44], -0.5, v[86:87]
	v_fma_f64 v[86:87], v[45:46], s[6:7], v[43:44]
	v_fma_f64 v[98:99], v[45:46], s[4:5], v[43:44]
	ds_write_b128 v4, v[92:95] offset:14976
	ds_write_b128 v4, v[84:87] offset:17472
	;; [unrolled: 1-line block ×3, first 2 shown]
	s_waitcnt lgkmcnt(0)
	s_barrier
	ds_read_b128 v[10:13], v255
	ds_read_b128 v[14:17], v255 offset:7488
	ds_read_b128 v[18:21], v255 offset:14976
	;; [unrolled: 1-line block ×11, first 2 shown]
	global_load_dwordx4 v[88:91], v[8:9], off offset:3360
	global_load_dwordx4 v[84:87], v[0:1], off offset:16
	s_waitcnt vmcnt(1) lgkmcnt(10)
	v_mul_f64 v[8:9], v[14:15], v[90:91]
	v_mul_f64 v[0:1], v[16:17], v[90:91]
	v_fma_f64 v[16:17], v[16:17], v[88:89], v[8:9]
	s_waitcnt vmcnt(0) lgkmcnt(9)
	v_mul_f64 v[8:9], v[20:21], v[86:87]
	v_fma_f64 v[0:1], v[14:15], v[88:89], -v[0:1]
	v_fma_f64 v[43:44], v[18:19], v[84:85], -v[8:9]
	v_mul_f64 v[8:9], v[18:19], v[86:87]
	v_fma_f64 v[20:21], v[20:21], v[84:85], v[8:9]
	v_lshlrev_b32_e32 v8, 4, v231
	v_add_co_u32_e64 v14, s[0:1], s14, v8
	v_addc_co_u32_e64 v15, s[0:1], 0, v7, s[0:1]
	v_add_co_u32_e64 v8, s[0:1], s12, v14
	v_addc_co_u32_e64 v9, s[0:1], 0, v15, s[0:1]
	;; [unrolled: 2-line block ×3, first 2 shown]
	global_load_dwordx4 v[96:99], v[14:15], off offset:3360
	global_load_dwordx4 v[92:95], v[8:9], off offset:16
	v_add_f64 v[18:19], v[16:17], -v[20:21]
	s_waitcnt vmcnt(1) lgkmcnt(7)
	v_mul_f64 v[8:9], v[24:25], v[98:99]
	v_fma_f64 v[45:46], v[22:23], v[96:97], -v[8:9]
	v_mul_f64 v[8:9], v[22:23], v[98:99]
	v_fma_f64 v[80:81], v[24:25], v[96:97], v[8:9]
	s_waitcnt vmcnt(0) lgkmcnt(6)
	v_mul_f64 v[8:9], v[29:30], v[94:95]
	v_fma_f64 v[82:83], v[27:28], v[92:93], -v[8:9]
	v_mul_f64 v[8:9], v[27:28], v[94:95]
	v_fma_f64 v[28:29], v[29:30], v[92:93], v[8:9]
	v_lshlrev_b32_e32 v8, 5, v26
	v_add_co_u32_e64 v14, s[0:1], s14, v8
	v_addc_co_u32_e64 v15, s[0:1], 0, v7, s[0:1]
	v_add_co_u32_e64 v8, s[0:1], s12, v14
	v_addc_co_u32_e64 v9, s[0:1], 0, v15, s[0:1]
	;; [unrolled: 2-line block ×3, first 2 shown]
	global_load_dwordx4 v[116:119], v[14:15], off offset:3360
	global_load_dwordx4 v[112:115], v[8:9], off offset:16
	buffer_load_dword v237, off, s[52:55], 0 offset:224 ; 4-byte Folded Reload
	s_waitcnt vmcnt(2) lgkmcnt(4)
	v_mul_f64 v[8:9], v[33:34], v[118:119]
	v_fma_f64 v[204:205], v[31:32], v[116:117], -v[8:9]
	v_mul_f64 v[8:9], v[31:32], v[118:119]
	v_fma_f64 v[206:207], v[33:34], v[116:117], v[8:9]
	s_waitcnt vmcnt(1) lgkmcnt(3)
	v_mul_f64 v[8:9], v[37:38], v[114:115]
	v_fma_f64 v[225:226], v[35:36], v[112:113], -v[8:9]
	v_mul_f64 v[8:9], v[35:36], v[114:115]
	v_fma_f64 v[227:228], v[37:38], v[112:113], v[8:9]
	s_waitcnt vmcnt(0)
	v_add_co_u32_e64 v9, s[0:1], s14, v237
	v_addc_co_u32_e64 v15, s[0:1], 0, v7, s[0:1]
	v_add_co_u32_e64 v7, s[0:1], s12, v9
	v_addc_co_u32_e64 v8, s[0:1], 0, v15, s[0:1]
	;; [unrolled: 2-line block ×3, first 2 shown]
	global_load_dwordx4 v[124:127], v[14:15], off offset:3360
	global_load_dwordx4 v[120:123], v[7:8], off offset:16
	v_add_f64 v[14:15], v[0:1], v[43:44]
	s_movk_i32 s0, 0x57c0
	s_waitcnt vmcnt(1) lgkmcnt(1)
	v_mul_f64 v[7:8], v[41:42], v[126:127]
	v_fma_f64 v[229:230], v[39:40], v[124:125], -v[7:8]
	v_mul_f64 v[7:8], v[39:40], v[126:127]
	v_fma_f64 v[231:232], v[41:42], v[124:125], v[7:8]
	s_waitcnt vmcnt(0) lgkmcnt(0)
	v_mul_f64 v[7:8], v[223:224], v[122:123]
	v_fma_f64 v[233:234], v[221:222], v[120:121], -v[7:8]
	v_mul_f64 v[7:8], v[221:222], v[122:123]
	v_fma_f64 v[221:222], v[223:224], v[120:121], v[7:8]
	v_add_f64 v[7:8], v[10:11], v[0:1]
	v_fma_f64 v[9:10], v[14:15], -0.5, v[10:11]
	v_add_f64 v[0:1], v[0:1], -v[43:44]
	v_add_f64 v[7:8], v[7:8], v[43:44]
	v_fma_f64 v[14:15], v[18:19], s[4:5], v[9:10]
	v_fma_f64 v[18:19], v[18:19], s[6:7], v[9:10]
	v_add_f64 v[9:10], v[12:13], v[16:17]
	v_add_f64 v[16:17], v[16:17], v[20:21]
	v_add_f64 v[9:10], v[9:10], v[20:21]
	v_fma_f64 v[11:12], v[16:17], -0.5, v[12:13]
	v_fma_f64 v[16:17], v[0:1], s[6:7], v[11:12]
	v_fma_f64 v[20:21], v[0:1], s[4:5], v[11:12]
	v_add_f64 v[0:1], v[216:217], v[45:46]
	v_add_f64 v[11:12], v[80:81], -v[28:29]
	v_add_f64 v[22:23], v[0:1], v[82:83]
	v_add_f64 v[0:1], v[45:46], v[82:83]
	v_fma_f64 v[0:1], v[0:1], -0.5, v[216:217]
	v_fma_f64 v[26:27], v[11:12], s[4:5], v[0:1]
	v_fma_f64 v[30:31], v[11:12], s[6:7], v[0:1]
	v_add_f64 v[0:1], v[218:219], v[80:81]
	v_add_f64 v[11:12], v[45:46], -v[82:83]
	v_add_f64 v[24:25], v[0:1], v[28:29]
	v_add_f64 v[0:1], v[80:81], v[28:29]
	v_fma_f64 v[0:1], v[0:1], -0.5, v[218:219]
	v_fma_f64 v[28:29], v[11:12], s[6:7], v[0:1]
	v_fma_f64 v[32:33], v[11:12], s[4:5], v[0:1]
	v_add_f64 v[0:1], v[212:213], v[204:205]
	v_add_f64 v[11:12], v[206:207], -v[227:228]
	v_add_f64 v[34:35], v[0:1], v[225:226]
	v_add_f64 v[0:1], v[204:205], v[225:226]
	v_fma_f64 v[0:1], v[0:1], -0.5, v[212:213]
	v_fma_f64 v[38:39], v[11:12], s[4:5], v[0:1]
	v_fma_f64 v[42:43], v[11:12], s[6:7], v[0:1]
	v_add_f64 v[0:1], v[214:215], v[206:207]
	v_add_f64 v[11:12], v[204:205], -v[225:226]
	v_add_f64 v[36:37], v[0:1], v[227:228]
	v_add_f64 v[0:1], v[206:207], v[227:228]
	v_fma_f64 v[0:1], v[0:1], -0.5, v[214:215]
	v_fma_f64 v[40:41], v[11:12], s[6:7], v[0:1]
	v_fma_f64 v[44:45], v[11:12], s[4:5], v[0:1]
	v_add_f64 v[0:1], v[208:209], v[229:230]
	v_add_f64 v[11:12], v[231:232], -v[221:222]
	v_add_f64 v[212:213], v[0:1], v[233:234]
	v_add_f64 v[0:1], v[229:230], v[233:234]
	v_fma_f64 v[0:1], v[0:1], -0.5, v[208:209]
	v_fma_f64 v[208:209], v[11:12], s[4:5], v[0:1]
	v_fma_f64 v[216:217], v[11:12], s[6:7], v[0:1]
	v_add_f64 v[0:1], v[210:211], v[231:232]
	v_add_f64 v[11:12], v[229:230], -v[233:234]
	v_add_f64 v[214:215], v[0:1], v[221:222]
	v_add_f64 v[0:1], v[231:232], v[221:222]
	v_fma_f64 v[0:1], v[0:1], -0.5, v[210:211]
	v_fma_f64 v[210:211], v[11:12], s[6:7], v[0:1]
	v_fma_f64 v[218:219], v[11:12], s[4:5], v[0:1]
	v_add_co_u32_e64 v0, s[0:1], s0, v5
	v_addc_co_u32_e64 v1, s[0:1], 0, v6, s[0:1]
	s_movk_i32 s0, 0x5000
	v_add_co_u32_e64 v11, s[0:1], s0, v5
	v_addc_co_u32_e64 v12, s[0:1], 0, v6, s[0:1]
	ds_write_b128 v255, v[7:10]
	ds_write_b128 v255, v[14:17] offset:7488
	ds_write_b128 v255, v[18:21] offset:14976
	;; [unrolled: 1-line block ×11, first 2 shown]
	s_waitcnt lgkmcnt(0)
	s_barrier
	global_load_dwordx4 v[11:14], v[11:12], off offset:1984
	ds_read_b128 v[7:10], v255
	s_mov_b32 s0, 0x8000
	v_add_co_u32_e64 v19, s[0:1], s0, v5
	v_addc_co_u32_e64 v20, s[0:1], 0, v6, s[0:1]
	s_mov_b32 s0, 0x9000
	s_waitcnt vmcnt(0) lgkmcnt(0)
	v_mul_f64 v[15:16], v[9:10], v[13:14]
	v_fma_f64 v[15:16], v[7:8], v[11:12], -v[15:16]
	v_mul_f64 v[7:8], v[7:8], v[13:14]
	v_fma_f64 v[17:18], v[9:10], v[11:12], v[7:8]
	global_load_dwordx4 v[11:14], v[19:20], off offset:928
	ds_read_b128 v[7:10], v255 offset:11232
	ds_write_b128 v255, v[15:18]
	s_waitcnt vmcnt(0) lgkmcnt(1)
	v_mul_f64 v[15:16], v[9:10], v[13:14]
	v_fma_f64 v[15:16], v[7:8], v[11:12], -v[15:16]
	v_mul_f64 v[7:8], v[7:8], v[13:14]
	v_fma_f64 v[17:18], v[9:10], v[11:12], v[7:8]
	global_load_dwordx4 v[11:14], v[0:1], off offset:1872
	ds_read_b128 v[7:10], v255 offset:1872
	ds_write_b128 v255, v[15:18] offset:11232
	s_waitcnt vmcnt(0) lgkmcnt(1)
	v_mul_f64 v[15:16], v[9:10], v[13:14]
	v_fma_f64 v[15:16], v[7:8], v[11:12], -v[15:16]
	v_mul_f64 v[7:8], v[7:8], v[13:14]
	v_fma_f64 v[17:18], v[9:10], v[11:12], v[7:8]
	global_load_dwordx4 v[11:14], v[19:20], off offset:2800
	ds_read_b128 v[7:10], v255 offset:13104
	ds_write_b128 v255, v[15:18] offset:1872
	;; [unrolled: 8-line block ×3, first 2 shown]
	s_waitcnt vmcnt(0) lgkmcnt(1)
	v_mul_f64 v[0:1], v[9:10], v[13:14]
	v_fma_f64 v[15:16], v[7:8], v[11:12], -v[0:1]
	v_mul_f64 v[0:1], v[7:8], v[13:14]
	v_fma_f64 v[17:18], v[9:10], v[11:12], v[0:1]
	v_add_co_u32_e64 v0, s[0:1], s0, v5
	v_addc_co_u32_e64 v1, s[0:1], 0, v6, s[0:1]
	global_load_dwordx4 v[11:14], v[0:1], off offset:576
	ds_read_b128 v[7:10], v255 offset:14976
	s_movk_i32 s0, 0x6000
	ds_write_b128 v255, v[15:18] offset:3744
	s_waitcnt vmcnt(0) lgkmcnt(1)
	v_mul_f64 v[15:16], v[9:10], v[13:14]
	v_fma_f64 v[15:16], v[7:8], v[11:12], -v[15:16]
	v_mul_f64 v[7:8], v[7:8], v[13:14]
	v_fma_f64 v[17:18], v[9:10], v[11:12], v[7:8]
	v_add_co_u32_e64 v11, s[0:1], s0, v5
	v_addc_co_u32_e64 v12, s[0:1], 0, v6, s[0:1]
	global_load_dwordx4 v[11:14], v[11:12], off offset:3504
	ds_read_b128 v[7:10], v255 offset:5616
	s_movk_i32 s0, 0x7000
	ds_write_b128 v255, v[15:18] offset:14976
	s_waitcnt vmcnt(0) lgkmcnt(1)
	v_mul_f64 v[15:16], v[9:10], v[13:14]
	v_fma_f64 v[15:16], v[7:8], v[11:12], -v[15:16]
	v_mul_f64 v[7:8], v[7:8], v[13:14]
	v_fma_f64 v[17:18], v[9:10], v[11:12], v[7:8]
	global_load_dwordx4 v[11:14], v[0:1], off offset:2448
	ds_read_b128 v[7:10], v255 offset:16848
	ds_write_b128 v255, v[15:18] offset:5616
	s_waitcnt vmcnt(0) lgkmcnt(1)
	v_mul_f64 v[0:1], v[9:10], v[13:14]
	v_fma_f64 v[15:16], v[7:8], v[11:12], -v[0:1]
	v_mul_f64 v[0:1], v[7:8], v[13:14]
	v_fma_f64 v[17:18], v[9:10], v[11:12], v[0:1]
	v_add_co_u32_e64 v0, s[0:1], s0, v5
	v_addc_co_u32_e64 v1, s[0:1], 0, v6, s[0:1]
	global_load_dwordx4 v[11:14], v[0:1], off offset:1280
	ds_read_b128 v[7:10], v255 offset:7488
	s_mov_b32 s0, 0xa000
	ds_write_b128 v255, v[15:18] offset:16848
	s_waitcnt vmcnt(0) lgkmcnt(1)
	v_mul_f64 v[15:16], v[9:10], v[13:14]
	v_fma_f64 v[15:16], v[7:8], v[11:12], -v[15:16]
	v_mul_f64 v[7:8], v[7:8], v[13:14]
	v_fma_f64 v[17:18], v[9:10], v[11:12], v[7:8]
	ds_read_b128 v[7:10], v255 offset:18720
	ds_write_b128 v255, v[15:18] offset:7488
	v_add_co_u32_e64 v17, s[0:1], s0, v5
	v_addc_co_u32_e64 v18, s[0:1], 0, v6, s[0:1]
	global_load_dwordx4 v[11:14], v[17:18], off offset:224
	s_waitcnt vmcnt(0) lgkmcnt(1)
	v_mul_f64 v[5:6], v[9:10], v[13:14]
	v_fma_f64 v[5:6], v[7:8], v[11:12], -v[5:6]
	v_mul_f64 v[7:8], v[7:8], v[13:14]
	v_fma_f64 v[7:8], v[9:10], v[11:12], v[7:8]
	global_load_dwordx4 v[9:12], v[0:1], off offset:3152
	ds_write_b128 v255, v[5:8] offset:18720
	ds_read_b128 v[5:8], v255 offset:9360
	s_waitcnt vmcnt(0) lgkmcnt(0)
	v_mul_f64 v[0:1], v[7:8], v[11:12]
	v_fma_f64 v[13:14], v[5:6], v[9:10], -v[0:1]
	v_mul_f64 v[0:1], v[5:6], v[11:12]
	v_fma_f64 v[15:16], v[7:8], v[9:10], v[0:1]
	global_load_dwordx4 v[9:12], v[17:18], off offset:2096
	ds_read_b128 v[5:8], v255 offset:20592
	ds_write_b128 v255, v[13:16] offset:9360
	s_waitcnt vmcnt(0) lgkmcnt(1)
	v_mul_f64 v[0:1], v[7:8], v[11:12]
	v_fma_f64 v[13:14], v[5:6], v[9:10], -v[0:1]
	v_mul_f64 v[0:1], v[5:6], v[11:12]
	v_fma_f64 v[15:16], v[7:8], v[9:10], v[0:1]
	ds_write_b128 v255, v[13:16] offset:20592
	s_waitcnt lgkmcnt(0)
	s_barrier
	ds_read_b128 v[5:8], v255
	ds_read_b128 v[9:12], v255 offset:11232
	ds_read_b128 v[13:16], v255 offset:1872
	;; [unrolled: 1-line block ×11, first 2 shown]
	s_waitcnt lgkmcnt(10)
	v_add_f64 v[9:10], v[5:6], -v[9:10]
	v_add_f64 v[11:12], v[7:8], -v[11:12]
	s_waitcnt lgkmcnt(8)
	v_add_f64 v[17:18], v[13:14], -v[17:18]
	v_add_f64 v[19:20], v[15:16], -v[19:20]
	;; [unrolled: 3-line block ×4, first 2 shown]
	v_fma_f64 v[5:6], v[5:6], 2.0, -v[9:10]
	v_fma_f64 v[7:8], v[7:8], 2.0, -v[11:12]
	;; [unrolled: 1-line block ×8, first 2 shown]
	s_waitcnt lgkmcnt(0)
	s_barrier
	ds_write_b128 v244, v[5:8]
	ds_write_b128 v244, v[9:12] offset:16
	ds_write_b128 v247, v[13:16]
	ds_write_b128 v247, v[17:20] offset:16
	;; [unrolled: 2-line block ×4, first 2 shown]
	buffer_load_dword v0, off, s[52:55], 0 offset:228 ; 4-byte Folded Reload
	v_add_f64 v[41:42], v[37:38], -v[41:42]
	v_add_f64 v[43:44], v[39:40], -v[43:44]
	;; [unrolled: 1-line block ×4, first 2 shown]
	v_fma_f64 v[37:38], v[37:38], 2.0, -v[41:42]
	v_fma_f64 v[39:40], v[39:40], 2.0, -v[43:44]
	s_waitcnt vmcnt(0)
	ds_write_b128 v0, v[37:40]
	ds_write_b128 v0, v[41:44] offset:16
	buffer_load_dword v0, off, s[52:55], 0 offset:232 ; 4-byte Folded Reload
	v_fma_f64 v[208:209], v[208:209], 2.0, -v[212:213]
	v_fma_f64 v[210:211], v[210:211], 2.0, -v[214:215]
	s_waitcnt vmcnt(0)
	ds_write_b128 v0, v[208:211]
	ds_write_b128 v0, v[212:215] offset:16
	s_waitcnt lgkmcnt(0)
	s_barrier
	ds_read_b128 v[5:8], v255
	ds_read_b128 v[9:12], v255 offset:11232
	ds_read_b128 v[13:16], v255 offset:1872
	;; [unrolled: 1-line block ×11, first 2 shown]
	buffer_load_dword v80, off, s[52:55], 0 offset:268 ; 4-byte Folded Reload
	buffer_load_dword v81, off, s[52:55], 0 offset:272 ; 4-byte Folded Reload
	s_waitcnt lgkmcnt(10)
	v_mul_f64 v[0:1], v[150:151], v[11:12]
	v_fma_f64 v[0:1], v[148:149], v[9:10], v[0:1]
	v_mul_f64 v[9:10], v[150:151], v[9:10]
	v_fma_f64 v[11:12], v[148:149], v[11:12], -v[9:10]
	s_waitcnt lgkmcnt(8)
	v_mul_f64 v[9:10], v[146:147], v[19:20]
	v_add_f64 v[11:12], v[7:8], -v[11:12]
	v_fma_f64 v[7:8], v[7:8], 2.0, -v[11:12]
	s_waitcnt vmcnt(0)
	v_fma_f64 v[45:46], v[80:81], v[17:18], v[9:10]
	v_mul_f64 v[9:10], v[146:147], v[17:18]
	buffer_load_dword v17, off, s[52:55], 0 offset:236 ; 4-byte Folded Reload
	buffer_load_dword v18, off, s[52:55], 0 offset:240 ; 4-byte Folded Reload
	s_waitcnt vmcnt(0) lgkmcnt(0)
	s_barrier
	v_fma_f64 v[19:20], v[80:81], v[19:20], -v[9:10]
	v_mul_f64 v[9:10], v[150:151], v[27:28]
	v_add_f64 v[19:20], v[15:16], -v[19:20]
	v_fma_f64 v[80:81], v[148:149], v[25:26], v[9:10]
	v_mul_f64 v[9:10], v[150:151], v[25:26]
	v_fma_f64 v[15:16], v[15:16], 2.0, -v[19:20]
	v_add_f64 v[25:26], v[21:22], -v[80:81]
	v_fma_f64 v[27:28], v[148:149], v[27:28], -v[9:10]
	v_mul_f64 v[9:10], v[162:163], v[35:36]
	v_fma_f64 v[21:22], v[21:22], 2.0, -v[25:26]
	v_add_f64 v[27:28], v[23:24], -v[27:28]
	v_fma_f64 v[82:83], v[160:161], v[33:34], v[9:10]
	v_mul_f64 v[9:10], v[162:163], v[33:34]
	v_fma_f64 v[23:24], v[23:24], 2.0, -v[27:28]
	v_add_f64 v[33:34], v[29:30], -v[82:83]
	v_fma_f64 v[35:36], v[160:161], v[35:36], -v[9:10]
	v_mul_f64 v[9:10], v[150:151], v[43:44]
	v_fma_f64 v[29:30], v[29:30], 2.0, -v[33:34]
	v_add_f64 v[35:36], v[31:32], -v[35:36]
	v_fma_f64 v[146:147], v[148:149], v[41:42], v[9:10]
	v_mul_f64 v[9:10], v[150:151], v[41:42]
	v_fma_f64 v[31:32], v[31:32], 2.0, -v[35:36]
	v_add_f64 v[41:42], v[37:38], -v[146:147]
	v_fma_f64 v[43:44], v[148:149], v[43:44], -v[9:10]
	v_fma_f64 v[37:38], v[37:38], 2.0, -v[41:42]
	v_add_f64 v[43:44], v[39:40], -v[43:44]
	v_fma_f64 v[39:40], v[39:40], 2.0, -v[43:44]
	v_mul_f64 v[9:10], v[17:18], v[214:215]
	v_fma_f64 v[148:149], v[144:145], v[212:213], v[9:10]
	v_mul_f64 v[9:10], v[17:18], v[212:213]
	v_add_f64 v[17:18], v[13:14], -v[45:46]
	v_fma_f64 v[150:151], v[144:145], v[214:215], -v[9:10]
	v_add_f64 v[9:10], v[5:6], -v[0:1]
	buffer_load_dword v0, off, s[52:55], 0 offset:244 ; 4-byte Folded Reload
	v_fma_f64 v[13:14], v[13:14], 2.0, -v[17:18]
	v_add_f64 v[144:145], v[208:209], -v[148:149]
	v_add_f64 v[146:147], v[210:211], -v[150:151]
	v_fma_f64 v[5:6], v[5:6], 2.0, -v[9:10]
	s_waitcnt vmcnt(0)
	ds_write_b128 v0, v[5:8]
	ds_write_b128 v0, v[9:12] offset:32
	buffer_load_dword v0, off, s[52:55], 0 offset:248 ; 4-byte Folded Reload
	s_waitcnt vmcnt(0)
	ds_write_b128 v0, v[13:16]
	ds_write_b128 v0, v[17:20] offset:32
	buffer_load_dword v0, off, s[52:55], 0 offset:252 ; 4-byte Folded Reload
	;; [unrolled: 4-line block ×5, first 2 shown]
	v_fma_f64 v[148:149], v[208:209], 2.0, -v[144:145]
	v_fma_f64 v[150:151], v[210:211], 2.0, -v[146:147]
	s_waitcnt vmcnt(0)
	ds_write_b128 v0, v[148:151]
	ds_write_b128 v0, v[144:147] offset:32
	s_waitcnt lgkmcnt(0)
	s_barrier
	ds_read_b128 v[5:8], v255
	ds_read_b128 v[9:12], v255 offset:7488
	ds_read_b128 v[13:16], v255 offset:14976
	;; [unrolled: 1-line block ×11, first 2 shown]
	s_waitcnt lgkmcnt(10)
	v_mul_f64 v[0:1], v[178:179], v[11:12]
	s_waitcnt lgkmcnt(0)
	s_barrier
	v_mul_f64 v[45:46], v[198:199], v[144:145]
	v_mul_f64 v[80:81], v[194:195], v[150:151]
	;; [unrolled: 1-line block ×3, first 2 shown]
	v_fma_f64 v[0:1], v[176:177], v[9:10], v[0:1]
	v_mul_f64 v[9:10], v[178:179], v[9:10]
	v_fma_f64 v[45:46], v[196:197], v[146:147], -v[45:46]
	v_fma_f64 v[80:81], v[192:193], v[148:149], v[80:81]
	v_fma_f64 v[82:83], v[192:193], v[150:151], -v[82:83]
	v_fma_f64 v[9:10], v[176:177], v[11:12], -v[9:10]
	v_mul_f64 v[11:12], v[166:167], v[15:16]
	v_fma_f64 v[11:12], v[164:165], v[13:14], v[11:12]
	v_mul_f64 v[13:14], v[166:167], v[13:14]
	v_fma_f64 v[13:14], v[164:165], v[15:16], -v[13:14]
	v_mul_f64 v[15:16], v[182:183], v[23:24]
	v_fma_f64 v[15:16], v[180:181], v[21:22], v[15:16]
	v_mul_f64 v[21:22], v[182:183], v[21:22]
	;; [unrolled: 4-line block ×5, first 2 shown]
	v_fma_f64 v[37:38], v[172:173], v[39:40], -v[37:38]
	v_mul_f64 v[39:40], v[198:199], v[146:147]
	v_add_f64 v[146:147], v[0:1], v[11:12]
	v_fma_f64 v[39:40], v[196:197], v[144:145], v[39:40]
	v_add_f64 v[144:145], v[5:6], v[0:1]
	v_fma_f64 v[5:6], v[146:147], -0.5, v[5:6]
	v_add_f64 v[146:147], v[9:10], -v[13:14]
	v_add_f64 v[0:1], v[0:1], -v[11:12]
	v_add_f64 v[144:145], v[144:145], v[11:12]
	v_fma_f64 v[148:149], v[146:147], s[6:7], v[5:6]
	v_fma_f64 v[160:161], v[146:147], s[4:5], v[5:6]
	v_add_f64 v[5:6], v[7:8], v[9:10]
	v_add_f64 v[146:147], v[5:6], v[13:14]
	;; [unrolled: 1-line block ×3, first 2 shown]
	v_fma_f64 v[5:6], v[5:6], -0.5, v[7:8]
	v_fma_f64 v[150:151], v[0:1], s[4:5], v[5:6]
	v_fma_f64 v[162:163], v[0:1], s[6:7], v[5:6]
	v_add_f64 v[0:1], v[17:18], v[15:16]
	v_add_f64 v[5:6], v[21:22], -v[25:26]
	v_add_f64 v[164:165], v[0:1], v[23:24]
	v_add_f64 v[0:1], v[15:16], v[23:24]
	v_fma_f64 v[0:1], v[0:1], -0.5, v[17:18]
	v_fma_f64 v[168:169], v[5:6], s[6:7], v[0:1]
	v_fma_f64 v[172:173], v[5:6], s[4:5], v[0:1]
	v_add_f64 v[0:1], v[19:20], v[21:22]
	v_add_f64 v[5:6], v[15:16], -v[23:24]
	v_add_f64 v[166:167], v[0:1], v[25:26]
	v_add_f64 v[0:1], v[21:22], v[25:26]
	;; [unrolled: 7-line block ×6, first 2 shown]
	v_fma_f64 v[0:1], v[0:1], -0.5, v[43:44]
	v_fma_f64 v[182:183], v[5:6], s[4:5], v[0:1]
	v_fma_f64 v[178:179], v[5:6], s[6:7], v[0:1]
	ds_write_b128 v235, v[144:147]
	ds_write_b128 v235, v[148:151] offset:64
	ds_write_b128 v235, v[160:163] offset:128
	ds_write_b128 v47, v[164:167]
	ds_write_b128 v47, v[168:171] offset:64
	ds_write_b128 v47, v[172:175] offset:128
	;; [unrolled: 3-line block ×4, first 2 shown]
	s_waitcnt lgkmcnt(0)
	s_barrier
	s_and_saveexec_b64 s[0:1], vcc
	s_cbranch_execz .LBB0_7
; %bb.6:
	ds_read_b128 v[144:147], v255
	ds_read_b128 v[148:151], v255 offset:1728
	ds_read_b128 v[160:163], v255 offset:3456
	;; [unrolled: 1-line block ×12, first 2 shown]
	s_waitcnt lgkmcnt(0)
	buffer_store_dword v5, off, s[52:55], 0 ; 4-byte Folded Spill
	s_nop 0
	buffer_store_dword v6, off, s[52:55], 0 offset:4 ; 4-byte Folded Spill
	buffer_store_dword v7, off, s[52:55], 0 offset:8 ; 4-byte Folded Spill
	buffer_store_dword v8, off, s[52:55], 0 offset:12 ; 4-byte Folded Spill
.LBB0_7:
	s_or_b64 exec, exec, s[0:1]
	s_waitcnt vmcnt(0)
	s_barrier
	s_and_saveexec_b64 s[0:1], vcc
	s_cbranch_execz .LBB0_9
; %bb.8:
	buffer_load_dword v27, off, s[52:55], 0 offset:276 ; 4-byte Folded Reload
	buffer_load_dword v28, off, s[52:55], 0 offset:280 ; 4-byte Folded Reload
	;; [unrolled: 1-line block ×4, first 2 shown]
	buffer_load_dword v31, off, s[52:55], 0 ; 4-byte Folded Reload
	buffer_load_dword v32, off, s[52:55], 0 offset:4 ; 4-byte Folded Reload
	buffer_load_dword v33, off, s[52:55], 0 offset:8 ; 4-byte Folded Reload
	;; [unrolled: 1-line block ×3, first 2 shown]
	v_mul_f64 v[0:1], v[158:159], v[190:191]
	v_mul_f64 v[5:6], v[158:159], v[188:189]
	;; [unrolled: 1-line block ×8, first 2 shown]
	v_fma_f64 v[214:215], v[156:157], v[188:189], v[0:1]
	v_mul_f64 v[0:1], v[154:155], v[210:211]
	v_fma_f64 v[188:189], v[156:157], v[190:191], -v[5:6]
	v_mul_f64 v[5:6], v[154:155], v[208:209]
	v_fma_f64 v[154:155], v[184:185], v[172:173], v[7:8]
	v_mul_f64 v[7:8], v[142:143], v[198:199]
	v_fma_f64 v[174:175], v[184:185], v[174:175], -v[9:10]
	v_mul_f64 v[9:10], v[142:143], v[196:197]
	v_fma_f64 v[172:173], v[128:129], v[168:169], v[11:12]
	v_fma_f64 v[212:213], v[152:153], v[208:209], v[0:1]
	v_mul_f64 v[11:12], v[202:203], v[194:195]
	v_fma_f64 v[190:191], v[152:153], v[210:211], -v[5:6]
	v_mul_f64 v[17:18], v[110:111], v[164:165]
	v_fma_f64 v[152:153], v[140:141], v[196:197], v[7:8]
	v_fma_f64 v[196:197], v[128:129], v[170:171], -v[13:14]
	v_fma_f64 v[170:171], v[108:109], v[164:165], v[15:16]
	v_mul_f64 v[15:16], v[138:139], v[182:183]
	v_fma_f64 v[164:165], v[100:101], v[160:161], v[19:20]
	v_mul_f64 v[19:20], v[134:135], v[178:179]
	v_mul_f64 v[21:22], v[102:103], v[160:161]
	v_fma_f64 v[156:157], v[200:201], v[192:193], v[11:12]
	v_mul_f64 v[13:14], v[202:203], v[192:193]
	v_fma_f64 v[192:193], v[108:109], v[166:167], -v[17:18]
	v_mul_f64 v[17:18], v[138:139], v[180:181]
	v_fma_f64 v[168:169], v[136:137], v[180:181], v[15:16]
	s_mov_b32 s26, 0x4bc48dbf
	v_fma_f64 v[158:159], v[132:133], v[176:177], v[19:20]
	v_fma_f64 v[180:181], v[100:101], v[162:163], -v[21:22]
	v_mul_f64 v[21:22], v[134:135], v[176:177]
	v_fma_f64 v[186:187], v[200:201], v[194:195], -v[13:14]
	s_mov_b32 s27, 0xbfcea1e5
	s_mov_b32 s28, 0x93053d00
	;; [unrolled: 1-line block ×4, first 2 shown]
	v_add_f64 v[223:224], v[164:165], -v[158:159]
	s_mov_b32 s29, 0xbfef11f4
	v_fma_f64 v[162:163], v[132:133], v[178:179], -v[21:22]
	v_add_f64 v[221:222], v[170:171], -v[168:169]
	v_fma_f64 v[166:167], v[136:137], v[182:183], -v[17:18]
	s_mov_b32 s20, 0x24c2f84
	s_mov_b32 s18, 0xe00740e9
	;; [unrolled: 1-line block ×3, first 2 shown]
	v_mul_f64 v[19:20], v[223:224], s[22:23]
	s_mov_b32 s19, 0x3fec55a7
	v_add_f64 v[202:203], v[180:181], v[162:163]
	v_add_f64 v[218:219], v[172:173], -v[156:157]
	v_mul_f64 v[15:16], v[221:222], s[20:21]
	v_add_f64 v[182:183], v[192:193], v[166:167]
	v_add_f64 v[245:246], v[180:181], -v[162:163]
	s_mov_b32 s36, 0x42a4c3d2
	s_mov_b32 s16, 0xd0032e0c
	;; [unrolled: 1-line block ×3, first 2 shown]
	v_fma_f64 v[21:22], v[202:203], s[18:19], v[19:20]
	s_mov_b32 s17, 0xbfe7f3cc
	v_add_f64 v[210:211], v[154:155], -v[152:153]
	v_fma_f64 v[184:185], v[140:141], v[198:199], -v[9:10]
	v_mul_f64 v[11:12], v[218:219], s[36:37]
	v_add_f64 v[194:195], v[196:197], v[186:187]
	v_fma_f64 v[17:18], v[182:183], s[16:17], v[15:16]
	v_add_f64 v[243:244], v[192:193], -v[166:167]
	v_add_f64 v[233:234], v[164:165], v[158:159]
	s_mov_b32 s12, 0x2ef20147
	s_mov_b32 s14, 0x1ea71119
	;; [unrolled: 1-line block ×4, first 2 shown]
	v_add_f64 v[216:217], v[214:215], -v[212:213]
	v_mul_f64 v[7:8], v[210:211], s[12:13]
	v_add_f64 v[198:199], v[174:175], v[184:185]
	v_fma_f64 v[13:14], v[194:195], s[14:15], v[11:12]
	v_add_f64 v[241:242], v[196:197], -v[186:187]
	s_waitcnt vmcnt(4)
	v_mul_f64 v[23:24], v[29:30], v[150:151]
	v_mul_f64 v[25:26], v[29:30], v[148:149]
	v_add_f64 v[231:232], v[170:171], v[168:169]
	s_mov_b32 s24, 0x66966769
	s_mov_b32 s6, 0xb2365da1
	;; [unrolled: 1-line block ×4, first 2 shown]
	v_mul_f64 v[0:1], v[216:217], s[24:25]
	v_fma_f64 v[176:177], v[27:28], v[148:149], v[23:24]
	s_waitcnt vmcnt(0)
	v_mul_f64 v[23:24], v[106:107], v[33:34]
	v_fma_f64 v[178:179], v[27:28], v[150:151], -v[25:26]
	v_mul_f64 v[25:26], v[106:107], v[31:32]
	v_mul_f64 v[27:28], v[243:244], s[20:21]
	v_add_f64 v[208:209], v[188:189], v[190:191]
	v_fma_f64 v[9:10], v[198:199], s[6:7], v[7:8]
	v_add_f64 v[239:240], v[174:175], -v[184:185]
	v_add_f64 v[229:230], v[172:173], v[156:157]
	v_fma_f64 v[160:161], v[104:105], v[31:32], v[23:24]
	v_mul_f64 v[31:32], v[245:246], s[22:23]
	v_fma_f64 v[200:201], v[104:105], v[33:34], -v[25:26]
	v_fma_f64 v[29:30], v[231:232], s[16:17], -v[27:28]
	s_mov_b32 s4, 0xebaa3ed8
	s_mov_b32 s5, 0x3fbedb7d
	v_fma_f64 v[5:6], v[208:209], s[4:5], v[0:1]
	v_add_f64 v[237:238], v[188:189], -v[190:191]
	v_add_f64 v[225:226], v[176:177], -v[160:161]
	v_add_f64 v[235:236], v[176:177], v[160:161]
	v_add_f64 v[204:205], v[178:179], v[200:201]
	v_add_f64 v[247:248], v[178:179], -v[200:201]
	v_fma_f64 v[33:34], v[233:234], s[18:19], -v[31:32]
	v_add_f64 v[227:228], v[154:155], v[152:153]
	v_add_f64 v[206:207], v[214:215], v[212:213]
	v_fma_f64 v[7:8], v[198:199], s[6:7], -v[7:8]
	v_mul_f64 v[23:24], v[225:226], s[26:27]
	v_fma_f64 v[0:1], v[208:209], s[4:5], -v[0:1]
	s_mov_b32 s31, 0xbfea55e2
	v_mul_f64 v[35:36], v[247:248], s[26:27]
	s_mov_b32 s30, s36
	s_mov_b32 s41, 0x3fcea1e5
	;; [unrolled: 1-line block ×4, first 2 shown]
	v_fma_f64 v[25:26], v[204:205], s[28:29], v[23:24]
	s_mov_b32 s38, s20
	s_mov_b32 s35, 0xbfefc445
	v_fma_f64 v[37:38], v[235:236], s[28:29], -v[35:36]
	s_mov_b32 s34, s24
	v_add_f64 v[25:26], v[146:147], v[25:26]
	v_add_f64 v[37:38], v[144:145], v[37:38]
	;; [unrolled: 1-line block ×5, first 2 shown]
	v_mul_f64 v[21:22], v[241:242], s[36:37]
	v_add_f64 v[29:30], v[29:30], v[33:34]
	v_add_f64 v[13:14], v[13:14], v[17:18]
	v_fma_f64 v[25:26], v[229:230], s[14:15], -v[21:22]
	v_add_f64 v[9:10], v[9:10], v[13:14]
	v_mul_f64 v[13:14], v[239:240], s[12:13]
	v_add_f64 v[25:26], v[25:26], v[29:30]
	v_add_f64 v[82:83], v[5:6], v[9:10]
	v_mul_f64 v[5:6], v[237:238], s[24:25]
	v_fma_f64 v[17:18], v[227:228], s[6:7], -v[13:14]
	v_fma_f64 v[9:10], v[206:207], s[4:5], -v[5:6]
	v_add_f64 v[17:18], v[17:18], v[25:26]
	v_add_f64 v[80:81], v[9:10], v[17:18]
	v_fma_f64 v[17:18], v[204:205], s[28:29], -v[23:24]
	v_fma_f64 v[9:10], v[194:195], s[14:15], -v[11:12]
	v_fma_f64 v[11:12], v[182:183], s[16:17], -v[15:16]
	v_fma_f64 v[15:16], v[202:203], s[18:19], -v[19:20]
	v_mul_f64 v[23:24], v[225:226], s[20:21]
	v_mul_f64 v[19:20], v[223:224], s[24:25]
	v_add_f64 v[17:18], v[146:147], v[17:18]
	v_fma_f64 v[25:26], v[204:205], s[16:17], v[23:24]
	v_add_f64 v[15:16], v[15:16], v[17:18]
	v_add_f64 v[25:26], v[146:147], v[25:26]
	v_add_f64 v[11:12], v[11:12], v[15:16]
	v_mul_f64 v[15:16], v[221:222], s[30:31]
	v_add_f64 v[9:10], v[9:10], v[11:12]
	v_fma_f64 v[11:12], v[233:234], s[18:19], v[31:32]
	v_fma_f64 v[17:18], v[182:183], s[14:15], v[15:16]
	v_mul_f64 v[31:32], v[245:246], s[24:25]
	v_add_f64 v[7:8], v[7:8], v[9:10]
	v_fma_f64 v[9:10], v[231:232], s[16:17], v[27:28]
	v_mul_f64 v[27:28], v[243:244], s[30:31]
	v_fma_f64 v[33:34], v[233:234], s[4:5], -v[31:32]
	v_add_f64 v[102:103], v[0:1], v[7:8]
	v_fma_f64 v[0:1], v[206:207], s[4:5], v[5:6]
	v_fma_f64 v[5:6], v[227:228], s[6:7], v[13:14]
	;; [unrolled: 1-line block ×5, first 2 shown]
	v_mul_f64 v[35:36], v[247:248], s[20:21]
	v_fma_f64 v[29:30], v[231:232], s[14:15], -v[27:28]
	v_add_f64 v[13:14], v[144:145], v[13:14]
	v_add_f64 v[21:22], v[21:22], v[25:26]
	v_fma_f64 v[37:38], v[235:236], s[16:17], -v[35:36]
	v_add_f64 v[11:12], v[11:12], v[13:14]
	v_add_f64 v[17:18], v[17:18], v[21:22]
	;; [unrolled: 1-line block ×3, first 2 shown]
	v_mul_f64 v[21:22], v[241:242], s[40:41]
	v_add_f64 v[9:10], v[9:10], v[11:12]
	v_mul_f64 v[11:12], v[218:219], s[40:41]
	v_add_f64 v[33:34], v[33:34], v[37:38]
	v_fma_f64 v[25:26], v[229:230], s[28:29], -v[21:22]
	v_add_f64 v[7:8], v[7:8], v[9:10]
	v_fma_f64 v[13:14], v[194:195], s[28:29], v[11:12]
	v_add_f64 v[29:30], v[29:30], v[33:34]
	v_add_f64 v[5:6], v[5:6], v[7:8]
	v_mul_f64 v[7:8], v[210:211], s[22:23]
	v_add_f64 v[13:14], v[13:14], v[17:18]
	v_add_f64 v[25:26], v[25:26], v[29:30]
	;; [unrolled: 1-line block ×3, first 2 shown]
	v_mul_f64 v[0:1], v[216:217], s[12:13]
	v_fma_f64 v[9:10], v[198:199], s[18:19], v[7:8]
	v_fma_f64 v[7:8], v[198:199], s[18:19], -v[7:8]
	v_fma_f64 v[5:6], v[208:209], s[6:7], v[0:1]
	v_add_f64 v[9:10], v[9:10], v[13:14]
	v_mul_f64 v[13:14], v[239:240], s[22:23]
	v_fma_f64 v[0:1], v[208:209], s[6:7], -v[0:1]
	v_add_f64 v[106:107], v[5:6], v[9:10]
	v_mul_f64 v[5:6], v[237:238], s[12:13]
	v_fma_f64 v[17:18], v[227:228], s[18:19], -v[13:14]
	v_fma_f64 v[9:10], v[206:207], s[6:7], -v[5:6]
	v_add_f64 v[17:18], v[17:18], v[25:26]
	v_add_f64 v[104:105], v[9:10], v[17:18]
	v_fma_f64 v[17:18], v[204:205], s[16:17], -v[23:24]
	v_fma_f64 v[9:10], v[194:195], s[28:29], -v[11:12]
	;; [unrolled: 1-line block ×4, first 2 shown]
	v_mul_f64 v[23:24], v[225:226], s[12:13]
	v_mul_f64 v[19:20], v[223:224], s[38:39]
	v_add_f64 v[17:18], v[146:147], v[17:18]
	v_fma_f64 v[25:26], v[204:205], s[6:7], v[23:24]
	v_add_f64 v[15:16], v[15:16], v[17:18]
	v_add_f64 v[25:26], v[146:147], v[25:26]
	;; [unrolled: 1-line block ×3, first 2 shown]
	v_mul_f64 v[15:16], v[221:222], s[22:23]
	v_add_f64 v[9:10], v[9:10], v[11:12]
	v_fma_f64 v[11:12], v[233:234], s[4:5], v[31:32]
	v_fma_f64 v[17:18], v[182:183], s[18:19], v[15:16]
	v_mul_f64 v[31:32], v[245:246], s[38:39]
	v_add_f64 v[7:8], v[7:8], v[9:10]
	v_fma_f64 v[9:10], v[231:232], s[14:15], v[27:28]
	v_mul_f64 v[27:28], v[243:244], s[22:23]
	v_fma_f64 v[33:34], v[233:234], s[16:17], -v[31:32]
	v_add_f64 v[110:111], v[0:1], v[7:8]
	v_fma_f64 v[0:1], v[206:207], s[6:7], v[5:6]
	v_fma_f64 v[5:6], v[227:228], s[18:19], v[13:14]
	;; [unrolled: 1-line block ×5, first 2 shown]
	v_mul_f64 v[35:36], v[247:248], s[12:13]
	v_fma_f64 v[29:30], v[231:232], s[18:19], -v[27:28]
	v_add_f64 v[13:14], v[144:145], v[13:14]
	v_add_f64 v[21:22], v[21:22], v[25:26]
	v_fma_f64 v[37:38], v[235:236], s[6:7], -v[35:36]
	v_add_f64 v[11:12], v[11:12], v[13:14]
	v_add_f64 v[17:18], v[17:18], v[21:22]
	v_add_f64 v[37:38], v[144:145], v[37:38]
	v_mul_f64 v[21:22], v[241:242], s[34:35]
	v_add_f64 v[9:10], v[9:10], v[11:12]
	v_mul_f64 v[11:12], v[218:219], s[34:35]
	v_add_f64 v[33:34], v[33:34], v[37:38]
	v_fma_f64 v[25:26], v[229:230], s[4:5], -v[21:22]
	v_add_f64 v[7:8], v[7:8], v[9:10]
	v_fma_f64 v[13:14], v[194:195], s[4:5], v[11:12]
	v_add_f64 v[29:30], v[29:30], v[33:34]
	v_add_f64 v[5:6], v[5:6], v[7:8]
	v_mul_f64 v[7:8], v[210:211], s[40:41]
	v_add_f64 v[13:14], v[13:14], v[17:18]
	v_add_f64 v[25:26], v[25:26], v[29:30]
	;; [unrolled: 1-line block ×3, first 2 shown]
	v_mul_f64 v[0:1], v[216:217], s[36:37]
	v_fma_f64 v[9:10], v[198:199], s[28:29], v[7:8]
	v_fma_f64 v[7:8], v[198:199], s[28:29], -v[7:8]
	v_fma_f64 v[5:6], v[208:209], s[14:15], v[0:1]
	v_add_f64 v[9:10], v[9:10], v[13:14]
	v_mul_f64 v[13:14], v[239:240], s[40:41]
	v_fma_f64 v[0:1], v[208:209], s[14:15], -v[0:1]
	v_add_f64 v[130:131], v[5:6], v[9:10]
	v_mul_f64 v[5:6], v[237:238], s[36:37]
	v_fma_f64 v[17:18], v[227:228], s[28:29], -v[13:14]
	s_mov_b32 s37, 0x3fedeba7
	s_mov_b32 s36, s12
	v_fma_f64 v[9:10], v[206:207], s[14:15], -v[5:6]
	v_add_f64 v[17:18], v[17:18], v[25:26]
	v_add_f64 v[128:129], v[9:10], v[17:18]
	v_fma_f64 v[17:18], v[204:205], s[6:7], -v[23:24]
	v_fma_f64 v[9:10], v[194:195], s[4:5], -v[11:12]
	;; [unrolled: 1-line block ×4, first 2 shown]
	v_mul_f64 v[23:24], v[225:226], s[34:35]
	v_mul_f64 v[19:20], v[223:224], s[26:27]
	v_add_f64 v[17:18], v[146:147], v[17:18]
	v_fma_f64 v[25:26], v[204:205], s[4:5], v[23:24]
	v_add_f64 v[15:16], v[15:16], v[17:18]
	v_add_f64 v[25:26], v[146:147], v[25:26]
	;; [unrolled: 1-line block ×3, first 2 shown]
	v_mul_f64 v[15:16], v[221:222], s[36:37]
	v_add_f64 v[9:10], v[9:10], v[11:12]
	v_fma_f64 v[11:12], v[233:234], s[16:17], v[31:32]
	v_fma_f64 v[17:18], v[182:183], s[6:7], v[15:16]
	v_mul_f64 v[31:32], v[245:246], s[26:27]
	v_add_f64 v[7:8], v[7:8], v[9:10]
	v_fma_f64 v[9:10], v[231:232], s[18:19], v[27:28]
	v_mul_f64 v[27:28], v[243:244], s[36:37]
	v_fma_f64 v[33:34], v[233:234], s[28:29], -v[31:32]
	v_add_f64 v[134:135], v[0:1], v[7:8]
	v_fma_f64 v[0:1], v[206:207], s[14:15], v[5:6]
	v_fma_f64 v[5:6], v[227:228], s[28:29], v[13:14]
	;; [unrolled: 1-line block ×5, first 2 shown]
	v_mul_f64 v[35:36], v[247:248], s[34:35]
	v_fma_f64 v[29:30], v[231:232], s[6:7], -v[27:28]
	v_add_f64 v[13:14], v[144:145], v[13:14]
	v_add_f64 v[21:22], v[21:22], v[25:26]
	v_fma_f64 v[37:38], v[235:236], s[4:5], -v[35:36]
	v_add_f64 v[11:12], v[11:12], v[13:14]
	v_add_f64 v[17:18], v[17:18], v[21:22]
	v_add_f64 v[37:38], v[144:145], v[37:38]
	v_mul_f64 v[21:22], v[241:242], s[22:23]
	v_add_f64 v[9:10], v[9:10], v[11:12]
	v_mul_f64 v[11:12], v[218:219], s[22:23]
	v_add_f64 v[33:34], v[33:34], v[37:38]
	v_fma_f64 v[25:26], v[229:230], s[18:19], -v[21:22]
	v_add_f64 v[7:8], v[7:8], v[9:10]
	v_fma_f64 v[13:14], v[194:195], s[18:19], v[11:12]
	v_add_f64 v[29:30], v[29:30], v[33:34]
	v_add_f64 v[5:6], v[5:6], v[7:8]
	v_mul_f64 v[7:8], v[210:211], s[30:31]
	v_add_f64 v[13:14], v[13:14], v[17:18]
	v_add_f64 v[25:26], v[25:26], v[29:30]
	;; [unrolled: 1-line block ×3, first 2 shown]
	v_mul_f64 v[0:1], v[216:217], s[20:21]
	v_fma_f64 v[9:10], v[198:199], s[14:15], v[7:8]
	v_fma_f64 v[7:8], v[198:199], s[14:15], -v[7:8]
	v_fma_f64 v[5:6], v[208:209], s[16:17], v[0:1]
	v_add_f64 v[9:10], v[9:10], v[13:14]
	v_mul_f64 v[13:14], v[239:240], s[30:31]
	v_fma_f64 v[0:1], v[208:209], s[16:17], -v[0:1]
	v_add_f64 v[138:139], v[5:6], v[9:10]
	v_mul_f64 v[5:6], v[237:238], s[20:21]
	v_fma_f64 v[17:18], v[227:228], s[14:15], -v[13:14]
	v_fma_f64 v[9:10], v[206:207], s[16:17], -v[5:6]
	v_add_f64 v[17:18], v[17:18], v[25:26]
	v_add_f64 v[136:137], v[9:10], v[17:18]
	v_fma_f64 v[17:18], v[204:205], s[4:5], -v[23:24]
	v_fma_f64 v[9:10], v[194:195], s[18:19], -v[11:12]
	;; [unrolled: 1-line block ×4, first 2 shown]
	v_mul_f64 v[23:24], v[225:226], s[30:31]
	v_mul_f64 v[19:20], v[223:224], s[12:13]
	v_add_f64 v[17:18], v[146:147], v[17:18]
	v_fma_f64 v[25:26], v[204:205], s[14:15], v[23:24]
	v_add_f64 v[15:16], v[15:16], v[17:18]
	v_add_f64 v[25:26], v[146:147], v[25:26]
	;; [unrolled: 1-line block ×3, first 2 shown]
	v_mul_f64 v[15:16], v[221:222], s[26:27]
	v_add_f64 v[9:10], v[9:10], v[11:12]
	v_fma_f64 v[11:12], v[233:234], s[28:29], v[31:32]
	v_fma_f64 v[17:18], v[182:183], s[28:29], v[15:16]
	v_mul_f64 v[31:32], v[245:246], s[12:13]
	v_add_f64 v[7:8], v[7:8], v[9:10]
	v_fma_f64 v[9:10], v[231:232], s[6:7], v[27:28]
	v_mul_f64 v[27:28], v[243:244], s[26:27]
	v_fma_f64 v[33:34], v[233:234], s[6:7], -v[31:32]
	v_add_f64 v[142:143], v[0:1], v[7:8]
	v_fma_f64 v[0:1], v[206:207], s[16:17], v[5:6]
	v_fma_f64 v[5:6], v[227:228], s[14:15], v[13:14]
	v_fma_f64 v[13:14], v[235:236], s[4:5], v[35:36]
	v_fma_f64 v[7:8], v[229:230], s[18:19], v[21:22]
	v_fma_f64 v[21:22], v[202:203], s[6:7], v[19:20]
	v_mul_f64 v[35:36], v[247:248], s[30:31]
	v_fma_f64 v[29:30], v[231:232], s[28:29], -v[27:28]
	v_add_f64 v[13:14], v[144:145], v[13:14]
	v_add_f64 v[21:22], v[21:22], v[25:26]
	v_fma_f64 v[37:38], v[235:236], s[14:15], -v[35:36]
	v_add_f64 v[11:12], v[11:12], v[13:14]
	v_add_f64 v[17:18], v[17:18], v[21:22]
	;; [unrolled: 1-line block ×3, first 2 shown]
	v_mul_f64 v[21:22], v[241:242], s[38:39]
	v_add_f64 v[9:10], v[9:10], v[11:12]
	v_mul_f64 v[11:12], v[218:219], s[38:39]
	v_add_f64 v[33:34], v[33:34], v[37:38]
	v_fma_f64 v[25:26], v[229:230], s[16:17], -v[21:22]
	v_mul_f64 v[37:38], v[245:246], s[30:31]
	v_add_f64 v[7:8], v[7:8], v[9:10]
	v_fma_f64 v[13:14], v[194:195], s[16:17], v[11:12]
	v_add_f64 v[29:30], v[29:30], v[33:34]
	v_mul_f64 v[33:34], v[243:244], s[34:35]
	v_fma_f64 v[39:40], v[233:234], s[14:15], -v[37:38]
	v_add_f64 v[5:6], v[5:6], v[7:8]
	v_mul_f64 v[7:8], v[210:211], s[24:25]
	v_add_f64 v[13:14], v[13:14], v[17:18]
	v_add_f64 v[25:26], v[25:26], v[29:30]
	;; [unrolled: 1-line block ×3, first 2 shown]
	v_mul_f64 v[0:1], v[216:217], s[22:23]
	v_fma_f64 v[9:10], v[198:199], s[4:5], v[7:8]
	v_fma_f64 v[7:8], v[198:199], s[4:5], -v[7:8]
	v_fma_f64 v[5:6], v[208:209], s[18:19], v[0:1]
	v_add_f64 v[9:10], v[9:10], v[13:14]
	v_mul_f64 v[13:14], v[239:240], s[24:25]
	v_fma_f64 v[0:1], v[208:209], s[18:19], -v[0:1]
	v_add_f64 v[150:151], v[5:6], v[9:10]
	v_mul_f64 v[5:6], v[237:238], s[22:23]
	v_fma_f64 v[17:18], v[227:228], s[4:5], -v[13:14]
	s_mov_b32 s23, 0xbfddbe06
	v_mul_f64 v[41:42], v[247:248], s[22:23]
	v_fma_f64 v[9:10], v[206:207], s[18:19], -v[5:6]
	v_add_f64 v[17:18], v[17:18], v[25:26]
	v_fma_f64 v[43:44], v[235:236], s[18:19], -v[41:42]
	v_add_f64 v[148:149], v[9:10], v[17:18]
	v_fma_f64 v[17:18], v[204:205], s[14:15], -v[23:24]
	v_fma_f64 v[9:10], v[194:195], s[16:17], -v[11:12]
	;; [unrolled: 1-line block ×4, first 2 shown]
	v_mul_f64 v[23:24], v[223:224], s[30:31]
	v_mul_f64 v[19:20], v[221:222], s[34:35]
	v_add_f64 v[43:44], v[144:145], v[43:44]
	v_add_f64 v[17:18], v[146:147], v[17:18]
	v_fma_f64 v[25:26], v[202:203], s[14:15], v[23:24]
	v_fma_f64 v[23:24], v[202:203], s[14:15], -v[23:24]
	v_add_f64 v[39:40], v[39:40], v[43:44]
	v_add_f64 v[15:16], v[15:16], v[17:18]
	;; [unrolled: 1-line block ×3, first 2 shown]
	v_fma_f64 v[15:16], v[235:236], s[14:15], v[35:36]
	v_fma_f64 v[35:36], v[231:232], s[4:5], -v[33:34]
	v_add_f64 v[9:10], v[9:10], v[11:12]
	v_fma_f64 v[11:12], v[231:232], s[28:29], v[27:28]
	v_add_f64 v[15:16], v[144:145], v[15:16]
	v_mul_f64 v[27:28], v[225:226], s[22:23]
	v_add_f64 v[35:36], v[35:36], v[39:40]
	v_add_f64 v[7:8], v[7:8], v[9:10]
	v_fma_f64 v[9:10], v[229:230], s[16:17], v[21:22]
	v_fma_f64 v[21:22], v[182:183], s[4:5], v[19:20]
	;; [unrolled: 1-line block ×3, first 2 shown]
	v_fma_f64 v[19:20], v[182:183], s[4:5], -v[19:20]
	v_add_f64 v[7:8], v[0:1], v[7:8]
	v_fma_f64 v[0:1], v[206:207], s[18:19], v[5:6]
	v_fma_f64 v[5:6], v[227:228], s[4:5], v[13:14]
	;; [unrolled: 1-line block ×3, first 2 shown]
	v_add_f64 v[29:30], v[146:147], v[29:30]
	v_add_f64 v[13:14], v[13:14], v[15:16]
	v_mul_f64 v[15:16], v[218:219], s[12:13]
	v_add_f64 v[25:26], v[25:26], v[29:30]
	v_mul_f64 v[29:30], v[241:242], s[12:13]
	;; [unrolled: 2-line block ×3, first 2 shown]
	v_fma_f64 v[17:18], v[194:195], s[6:7], v[15:16]
	v_add_f64 v[21:22], v[21:22], v[25:26]
	v_fma_f64 v[31:32], v[229:230], s[6:7], -v[29:30]
	v_fma_f64 v[15:16], v[194:195], s[6:7], -v[15:16]
	v_add_f64 v[9:10], v[9:10], v[11:12]
	v_fma_f64 v[11:12], v[198:199], s[16:17], v[13:14]
	v_fma_f64 v[13:14], v[198:199], s[16:17], -v[13:14]
	v_add_f64 v[17:18], v[17:18], v[21:22]
	v_mul_f64 v[21:22], v[239:240], s[20:21]
	v_add_f64 v[31:32], v[31:32], v[35:36]
	v_add_f64 v[5:6], v[5:6], v[9:10]
	;; [unrolled: 1-line block ×3, first 2 shown]
	v_mul_f64 v[17:18], v[237:238], s[26:27]
	v_fma_f64 v[25:26], v[227:228], s[16:17], -v[21:22]
	v_add_f64 v[5:6], v[0:1], v[5:6]
	v_mul_f64 v[0:1], v[216:217], s[26:27]
	v_add_f64 v[25:26], v[25:26], v[31:32]
	v_fma_f64 v[9:10], v[208:209], s[28:29], v[0:1]
	v_fma_f64 v[0:1], v[208:209], s[28:29], -v[0:1]
	v_add_f64 v[11:12], v[9:10], v[11:12]
	v_fma_f64 v[9:10], v[206:207], s[28:29], -v[17:18]
	v_add_f64 v[9:10], v[9:10], v[25:26]
	v_fma_f64 v[25:26], v[204:205], s[18:19], -v[27:28]
	v_add_f64 v[25:26], v[146:147], v[25:26]
	v_add_f64 v[23:24], v[23:24], v[25:26]
	v_add_f64 v[19:20], v[19:20], v[23:24]
	v_fma_f64 v[23:24], v[235:236], s[18:19], v[41:42]
	v_add_f64 v[15:16], v[15:16], v[19:20]
	v_add_f64 v[23:24], v[144:145], v[23:24]
	v_fma_f64 v[19:20], v[231:232], s[4:5], v[33:34]
	;; [unrolled: 3-line block ×3, first 2 shown]
	v_fma_f64 v[21:22], v[233:234], s[14:15], v[37:38]
	v_fma_f64 v[0:1], v[206:207], s[28:29], v[17:18]
	;; [unrolled: 1-line block ×3, first 2 shown]
	v_add_f64 v[21:22], v[21:22], v[23:24]
	v_add_f64 v[19:20], v[19:20], v[21:22]
	;; [unrolled: 1-line block ×29, first 2 shown]
	buffer_load_dword v0, off, s[52:55], 0 offset:216 ; 4-byte Folded Reload
	buffer_load_dword v1, off, s[52:55], 0 offset:220 ; 4-byte Folded Reload
	s_waitcnt vmcnt(1)
	v_mul_u32_u24_e32 v0, 0x9c, v0
	s_waitcnt vmcnt(0)
	v_add_lshl_u32 v0, v0, v1, 4
	ds_write_b128 v0, v[17:20]
	ds_write_b128 v0, v[13:16] offset:192
	ds_write_b128 v0, v[5:8] offset:384
	;; [unrolled: 1-line block ×12, first 2 shown]
.LBB0_9:
	s_or_b64 exec, exec, s[0:1]
	buffer_load_dword v106, off, s[52:55], 0 offset:16 ; 4-byte Folded Reload
	buffer_load_dword v107, off, s[52:55], 0 offset:20 ; 4-byte Folded Reload
	s_waitcnt vmcnt(0) lgkmcnt(0)
	s_barrier
	ds_read_b128 v[5:8], v255 offset:7488
	ds_read_b128 v[9:12], v255
	ds_read_b128 v[13:16], v255 offset:1872
	ds_read_b128 v[17:20], v255 offset:9360
	;; [unrolled: 1-line block ×4, first 2 shown]
	s_waitcnt lgkmcnt(5)
	v_mul_f64 v[45:46], v[54:55], v[7:8]
	v_mul_f64 v[54:55], v[54:55], v[5:6]
	ds_read_b128 v[29:32], v255 offset:3744
	ds_read_b128 v[33:36], v255 offset:5616
	s_waitcnt lgkmcnt(3)
	v_mul_f64 v[104:105], v[50:51], v[23:24]
	ds_read_b128 v[37:40], v255 offset:11232
	ds_read_b128 v[41:44], v255 offset:13104
	ds_read_b128 v[80:83], v255 offset:18720
	ds_read_b128 v[100:103], v255 offset:20592
	s_mov_b32 s5, 0x3febb67a
	s_waitcnt lgkmcnt(0)
	v_fma_f64 v[45:46], v[52:53], v[5:6], v[45:46]
	v_mul_f64 v[5:6], v[50:51], v[21:22]
	v_mul_f64 v[50:51], v[62:63], v[19:20]
	v_fma_f64 v[7:8], v[52:53], v[7:8], -v[54:55]
	v_mul_f64 v[52:53], v[62:63], v[17:18]
	v_mul_f64 v[54:55], v[58:59], v[27:28]
	v_fma_f64 v[21:22], v[48:49], v[21:22], v[104:105]
	v_mul_f64 v[58:59], v[58:59], v[25:26]
	v_mul_f64 v[62:63], v[70:71], v[39:40]
	v_fma_f64 v[23:24], v[48:49], v[23:24], -v[5:6]
	v_mul_f64 v[5:6], v[70:71], v[37:38]
	v_fma_f64 v[47:48], v[60:61], v[17:18], v[50:51]
	v_mul_f64 v[17:18], v[66:67], v[82:83]
	v_fma_f64 v[49:50], v[60:61], v[19:20], -v[52:53]
	v_mul_f64 v[19:20], v[66:67], v[80:81]
	v_fma_f64 v[25:26], v[56:57], v[25:26], v[54:55]
	v_fma_f64 v[27:28], v[56:57], v[27:28], -v[58:59]
	v_fma_f64 v[51:52], v[68:69], v[37:38], v[62:63]
	v_fma_f64 v[39:40], v[68:69], v[39:40], -v[5:6]
	v_mul_f64 v[5:6], v[78:79], v[43:44]
	v_mul_f64 v[37:38], v[78:79], v[41:42]
	v_add_f64 v[53:54], v[45:46], v[21:22]
	v_fma_f64 v[55:56], v[64:65], v[80:81], v[17:18]
	v_mul_f64 v[17:18], v[74:75], v[102:103]
	v_fma_f64 v[59:60], v[64:65], v[82:83], -v[19:20]
	v_add_f64 v[19:20], v[9:10], v[45:46]
	v_mul_f64 v[57:58], v[74:75], v[100:101]
	v_fma_f64 v[61:62], v[76:77], v[41:42], v[5:6]
	v_fma_f64 v[43:44], v[76:77], v[43:44], -v[37:38]
	v_fma_f64 v[37:38], v[53:54], -0.5, v[9:10]
	v_add_f64 v[41:42], v[7:8], -v[23:24]
	v_fma_f64 v[53:54], v[72:73], v[100:101], v[17:18]
	v_add_f64 v[17:18], v[7:8], v[23:24]
	v_add_f64 v[7:8], v[11:12], v[7:8]
	;; [unrolled: 1-line block ×4, first 2 shown]
	v_add_f64 v[21:22], v[45:46], -v[21:22]
	v_add_f64 v[45:46], v[49:50], -v[27:28]
	v_fma_f64 v[57:58], v[72:73], v[102:103], -v[57:58]
	v_add_f64 v[65:66], v[51:52], v[55:56]
	v_fma_f64 v[63:64], v[17:18], -0.5, v[11:12]
	v_add_f64 v[7:8], v[7:8], v[23:24]
	v_add_f64 v[23:24], v[49:50], v[27:28]
	;; [unrolled: 1-line block ×3, first 2 shown]
	v_add_f64 v[67:68], v[39:40], -v[59:60]
	s_barrier
	v_fma_f64 v[65:66], v[65:66], -0.5, v[29:30]
	v_mad_u64_u32 v[0:1], s[0:1], s10, v106, 0
	s_mov_b32 s0, 0xe8584caa
	s_mov_b32 s1, 0xbfebb67a
	;; [unrolled: 1-line block ×3, first 2 shown]
	v_fma_f64 v[9:10], v[41:42], s[0:1], v[37:38]
	v_fma_f64 v[17:18], v[41:42], s[4:5], v[37:38]
	v_add_f64 v[37:38], v[13:14], v[47:48]
	v_fma_f64 v[41:42], v[19:20], -0.5, v[13:14]
	v_fma_f64 v[11:12], v[21:22], s[4:5], v[63:64]
	v_fma_f64 v[19:20], v[21:22], s[0:1], v[63:64]
	v_fma_f64 v[63:64], v[23:24], -0.5, v[15:16]
	v_add_f64 v[47:48], v[47:48], -v[25:26]
	v_add_f64 v[15:16], v[49:50], v[27:28]
	v_add_f64 v[49:50], v[43:44], v[57:58]
	;; [unrolled: 1-line block ×3, first 2 shown]
	v_fma_f64 v[21:22], v[45:46], s[0:1], v[41:42]
	v_add_f64 v[37:38], v[29:30], v[51:52]
	v_fma_f64 v[25:26], v[45:46], s[4:5], v[41:42]
	v_add_f64 v[45:46], v[39:40], v[59:60]
	v_fma_f64 v[23:24], v[47:48], s[4:5], v[63:64]
	v_fma_f64 v[27:28], v[47:48], s[0:1], v[63:64]
	v_add_f64 v[47:48], v[61:62], v[53:54]
	v_add_f64 v[39:40], v[31:32], v[39:40]
	v_add_f64 v[51:52], v[51:52], -v[55:56]
	v_add_f64 v[29:30], v[37:38], v[55:56]
	v_add_f64 v[55:56], v[33:34], v[61:62]
	v_fma_f64 v[45:46], v[45:46], -0.5, v[31:32]
	v_fma_f64 v[37:38], v[67:68], s[0:1], v[65:66]
	v_fma_f64 v[41:42], v[67:68], s[4:5], v[65:66]
	v_fma_f64 v[47:48], v[47:48], -0.5, v[33:34]
	v_add_f64 v[63:64], v[43:44], -v[57:58]
	v_add_f64 v[65:66], v[35:36], v[43:44]
	v_fma_f64 v[67:68], v[49:50], -0.5, v[35:36]
	v_add_f64 v[61:62], v[61:62], -v[53:54]
	v_add_f64 v[31:32], v[39:40], v[59:60]
	v_fma_f64 v[39:40], v[51:52], s[4:5], v[45:46]
	v_add_f64 v[33:34], v[55:56], v[53:54]
	v_fma_f64 v[43:44], v[51:52], s[0:1], v[45:46]
	v_fma_f64 v[45:46], v[63:64], s[0:1], v[47:48]
	;; [unrolled: 1-line block ×3, first 2 shown]
	v_add_f64 v[35:36], v[65:66], v[57:58]
	v_fma_f64 v[47:48], v[61:62], s[4:5], v[67:68]
	v_fma_f64 v[51:52], v[61:62], s[0:1], v[67:68]
	ds_write_b128 v255, v[5:8]
	ds_write_b128 v255, v[9:12] offset:2496
	ds_write_b128 v255, v[17:20] offset:4992
	ds_write_b128 v2, v[13:16]
	ds_write_b128 v2, v[21:24] offset:2496
	ds_write_b128 v2, v[25:28] offset:4992
	;; [unrolled: 3-line block ×3, first 2 shown]
	ds_write_b128 v4, v[33:36] offset:14976
	ds_write_b128 v4, v[45:48] offset:17472
	;; [unrolled: 1-line block ×3, first 2 shown]
	s_waitcnt lgkmcnt(0)
	s_barrier
	ds_read_b128 v[2:5], v255
	ds_read_b128 v[6:9], v255 offset:1872
	ds_read_b128 v[10:13], v255 offset:7488
	;; [unrolled: 1-line block ×7, first 2 shown]
	s_waitcnt lgkmcnt(5)
	v_mul_f64 v[50:51], v[90:91], v[12:13]
	v_mul_f64 v[52:53], v[90:91], v[10:11]
	s_waitcnt lgkmcnt(3)
	v_mul_f64 v[54:55], v[86:87], v[20:21]
	v_mul_f64 v[56:57], v[86:87], v[18:19]
	;; [unrolled: 1-line block ×3, first 2 shown]
	ds_read_b128 v[34:37], v255 offset:11232
	ds_read_b128 v[38:41], v255 offset:13104
	;; [unrolled: 1-line block ×4, first 2 shown]
	v_fma_f64 v[10:11], v[88:89], v[10:11], v[50:51]
	v_mul_f64 v[50:51], v[98:99], v[14:15]
	v_fma_f64 v[12:13], v[88:89], v[12:13], -v[52:53]
	v_fma_f64 v[18:19], v[84:85], v[18:19], v[54:55]
	s_waitcnt lgkmcnt(6)
	v_mul_f64 v[52:53], v[94:95], v[24:25]
	v_fma_f64 v[20:21], v[84:85], v[20:21], -v[56:57]
	v_mul_f64 v[54:55], v[94:95], v[22:23]
	v_fma_f64 v[56:57], v[96:97], v[14:15], v[58:59]
	s_waitcnt lgkmcnt(3)
	v_mul_f64 v[14:15], v[118:119], v[36:37]
	v_fma_f64 v[50:51], v[96:97], v[16:17], -v[50:51]
	s_waitcnt lgkmcnt(1)
	v_mul_f64 v[16:17], v[114:115], v[44:45]
	v_mul_f64 v[58:59], v[118:119], v[34:35]
	v_fma_f64 v[22:23], v[92:93], v[22:23], v[52:53]
	v_mul_f64 v[52:53], v[114:115], v[42:43]
	v_fma_f64 v[24:25], v[92:93], v[24:25], -v[54:55]
	v_mul_f64 v[54:55], v[126:127], v[40:41]
	v_fma_f64 v[60:61], v[116:117], v[34:35], v[14:15]
	v_mul_f64 v[14:15], v[126:127], v[38:39]
	v_fma_f64 v[42:43], v[112:113], v[42:43], v[16:17]
	v_add_f64 v[16:17], v[10:11], v[18:19]
	s_waitcnt lgkmcnt(0)
	v_mul_f64 v[34:35], v[122:123], v[48:49]
	v_fma_f64 v[36:37], v[116:117], v[36:37], -v[58:59]
	v_fma_f64 v[44:45], v[112:113], v[44:45], -v[52:53]
	v_fma_f64 v[52:53], v[124:125], v[38:39], v[54:55]
	v_mul_f64 v[38:39], v[122:123], v[46:47]
	v_add_f64 v[54:55], v[2:3], v[10:11]
	v_fma_f64 v[40:41], v[124:125], v[40:41], -v[14:15]
	v_add_f64 v[14:15], v[12:13], v[20:21]
	v_add_f64 v[58:59], v[12:13], -v[20:21]
	v_add_f64 v[12:13], v[4:5], v[12:13]
	v_fma_f64 v[16:17], v[16:17], -0.5, v[2:3]
	v_fma_f64 v[46:47], v[120:121], v[46:47], v[34:35]
	v_add_f64 v[34:35], v[56:57], v[22:23]
	v_fma_f64 v[48:49], v[120:121], v[48:49], -v[38:39]
	v_add_f64 v[2:3], v[54:55], v[18:19]
	v_fma_f64 v[38:39], v[14:15], -0.5, v[4:5]
	v_add_f64 v[18:19], v[10:11], -v[18:19]
	v_add_f64 v[4:5], v[12:13], v[20:21]
	v_add_f64 v[20:21], v[50:51], v[24:25]
	;; [unrolled: 1-line block ×3, first 2 shown]
	v_fma_f64 v[10:11], v[58:59], s[0:1], v[16:17]
	v_fma_f64 v[14:15], v[58:59], s[4:5], v[16:17]
	v_fma_f64 v[34:35], v[34:35], -0.5, v[6:7]
	v_add_f64 v[58:59], v[50:51], -v[24:25]
	v_fma_f64 v[12:13], v[18:19], s[4:5], v[38:39]
	v_add_f64 v[62:63], v[60:61], v[42:43]
	v_fma_f64 v[16:17], v[18:19], s[0:1], v[38:39]
	v_add_f64 v[38:39], v[8:9], v[50:51]
	v_fma_f64 v[50:51], v[20:21], -0.5, v[8:9]
	v_add_f64 v[56:57], v[56:57], -v[22:23]
	v_add_f64 v[6:7], v[54:55], v[22:23]
	v_add_f64 v[54:55], v[26:27], v[60:61]
	v_fma_f64 v[18:19], v[58:59], s[0:1], v[34:35]
	v_fma_f64 v[22:23], v[58:59], s[4:5], v[34:35]
	v_add_f64 v[58:59], v[36:37], v[44:45]
	v_fma_f64 v[62:63], v[62:63], -0.5, v[26:27]
	v_add_f64 v[64:65], v[36:37], -v[44:45]
	v_add_f64 v[8:9], v[38:39], v[24:25]
	v_fma_f64 v[20:21], v[56:57], s[4:5], v[50:51]
	v_fma_f64 v[24:25], v[56:57], s[0:1], v[50:51]
	v_add_f64 v[26:27], v[54:55], v[42:43]
	v_add_f64 v[50:51], v[52:53], v[46:47]
	;; [unrolled: 1-line block ×4, first 2 shown]
	v_fma_f64 v[56:57], v[58:59], -0.5, v[28:29]
	v_add_f64 v[42:43], v[60:61], -v[42:43]
	v_fma_f64 v[34:35], v[64:65], s[0:1], v[62:63]
	v_fma_f64 v[38:39], v[64:65], s[4:5], v[62:63]
	v_add_f64 v[58:59], v[30:31], v[52:53]
	v_fma_f64 v[50:51], v[50:51], -0.5, v[30:31]
	v_add_f64 v[60:61], v[40:41], -v[48:49]
	v_add_f64 v[62:63], v[32:33], v[40:41]
	v_fma_f64 v[54:55], v[54:55], -0.5, v[32:33]
	v_add_f64 v[52:53], v[52:53], -v[46:47]
	v_add_f64 v[28:29], v[36:37], v[44:45]
	v_fma_f64 v[36:37], v[42:43], s[4:5], v[56:57]
	v_fma_f64 v[40:41], v[42:43], s[0:1], v[56:57]
	v_add_f64 v[30:31], v[58:59], v[46:47]
	v_fma_f64 v[42:43], v[60:61], s[0:1], v[50:51]
	v_fma_f64 v[46:47], v[60:61], s[4:5], v[50:51]
	;; [unrolled: 3-line block ×3, first 2 shown]
	ds_write_b128 v255, v[2:5]
	ds_write_b128 v255, v[10:13] offset:7488
	ds_write_b128 v255, v[14:17] offset:14976
	;; [unrolled: 1-line block ×11, first 2 shown]
	s_waitcnt lgkmcnt(0)
	s_barrier
	ds_read_b128 v[2:5], v255
	ds_read_b128 v[6:9], v255 offset:1872
	buffer_load_dword v15, off, s[52:55], 0 offset:152 ; 4-byte Folded Reload
	buffer_load_dword v16, off, s[52:55], 0 offset:156 ; 4-byte Folded Reload
	;; [unrolled: 1-line block ×4, first 2 shown]
	v_mov_b32_e32 v24, s3
	s_mul_hi_u32 s3, s8, 0x2be0
	s_waitcnt lgkmcnt(1)
	v_mad_u64_u32 v[12:13], s[0:1], s11, v106, v[1:2]
	v_mov_b32_e32 v1, v12
	v_lshlrev_b64 v[0:1], 4, v[0:1]
	v_add_co_u32_e32 v25, vcc, s2, v0
	v_addc_co_u32_e32 v24, vcc, v24, v1, vcc
	s_mul_i32 s2, s9, 0x2be0
	s_add_i32 s2, s3, s2
	s_mul_i32 s3, s8, 0x2be0
	s_waitcnt vmcnt(0)
	v_mul_f64 v[10:11], v[17:18], v[4:5]
	v_mul_f64 v[13:14], v[17:18], v[2:3]
	v_mad_u64_u32 v[18:19], s[0:1], s8, v220, 0
	s_mov_b32 s0, 0xc201756d
	s_mov_b32 s1, 0x3f4756ca
	v_fma_f64 v[2:3], v[15:16], v[2:3], v[10:11]
	v_mov_b32_e32 v10, v19
	v_fma_f64 v[4:5], v[15:16], v[4:5], -v[13:14]
	v_mad_u64_u32 v[14:15], s[4:5], s9, v220, v[10:11]
	ds_read_b128 v[10:13], v255 offset:11232
	s_mul_hi_u32 s5, s8, 0xffffdb70
	v_mov_b32_e32 v19, v14
	ds_read_b128 v[14:17], v255 offset:13104
	buffer_load_dword v26, off, s[52:55], 0 offset:24 ; 4-byte Folded Reload
	buffer_load_dword v27, off, s[52:55], 0 offset:28 ; 4-byte Folded Reload
	;; [unrolled: 1-line block ×4, first 2 shown]
	v_mul_f64 v[2:3], v[2:3], s[0:1]
	v_mul_f64 v[4:5], v[4:5], s[0:1]
	v_lshlrev_b64 v[0:1], 4, v[18:19]
	s_mul_i32 s4, s9, 0xffffdb70
	v_add_co_u32_e32 v18, vcc, v25, v0
	v_addc_co_u32_e32 v19, vcc, v24, v1, vcc
	s_sub_i32 s5, s5, s8
	global_store_dwordx4 v[18:19], v[2:5], off
	s_add_i32 s5, s5, s4
	s_mul_i32 s4, s8, 0xffffdb70
	s_waitcnt vmcnt(1) lgkmcnt(1)
	v_mul_f64 v[22:23], v[28:29], v[10:11]
	v_mul_f64 v[20:21], v[28:29], v[12:13]
	v_fma_f64 v[12:13], v[26:27], v[12:13], -v[22:23]
	buffer_load_dword v22, off, s[52:55], 0 offset:120 ; 4-byte Folded Reload
	buffer_load_dword v23, off, s[52:55], 0 offset:124 ; 4-byte Folded Reload
	;; [unrolled: 1-line block ×4, first 2 shown]
	v_fma_f64 v[10:11], v[26:27], v[10:11], v[20:21]
	v_mul_f64 v[2:3], v[12:13], s[0:1]
	v_add_co_u32_e32 v12, vcc, s3, v18
	v_mul_f64 v[0:1], v[10:11], s[0:1]
	s_waitcnt vmcnt(0)
	v_mul_f64 v[4:5], v[24:25], v[8:9]
	v_mul_f64 v[20:21], v[24:25], v[6:7]
	v_fma_f64 v[4:5], v[22:23], v[6:7], v[4:5]
	v_fma_f64 v[6:7], v[22:23], v[8:9], -v[20:21]
	v_mov_b32_e32 v8, s2
	v_addc_co_u32_e32 v13, vcc, v19, v8, vcc
	global_store_dwordx4 v[12:13], v[0:3], off
	buffer_load_dword v18, off, s[52:55], 0 offset:168 ; 4-byte Folded Reload
	buffer_load_dword v19, off, s[52:55], 0 offset:172 ; 4-byte Folded Reload
	;; [unrolled: 1-line block ×4, first 2 shown]
	v_mov_b32_e32 v23, s5
	v_mul_f64 v[0:1], v[4:5], s[0:1]
	v_mul_f64 v[2:3], v[6:7], s[0:1]
	ds_read_b128 v[4:7], v255 offset:3744
	v_add_co_u32_e32 v22, vcc, s4, v12
	v_addc_co_u32_e32 v23, vcc, v13, v23, vcc
	s_waitcnt vmcnt(0) lgkmcnt(1)
	v_mul_f64 v[8:9], v[20:21], v[16:17]
	v_mul_f64 v[10:11], v[20:21], v[14:15]
	v_fma_f64 v[14:15], v[18:19], v[14:15], v[8:9]
	v_fma_f64 v[16:17], v[18:19], v[16:17], -v[10:11]
	ds_read_b128 v[8:11], v255 offset:5616
	buffer_load_dword v24, off, s[52:55], 0 offset:72 ; 4-byte Folded Reload
	buffer_load_dword v25, off, s[52:55], 0 offset:76 ; 4-byte Folded Reload
	;; [unrolled: 1-line block ×4, first 2 shown]
	s_waitcnt vmcnt(0) lgkmcnt(1)
	v_mul_f64 v[18:19], v[26:27], v[6:7]
	v_mul_f64 v[20:21], v[26:27], v[4:5]
	global_store_dwordx4 v[22:23], v[0:3], off
	v_mov_b32_e32 v26, s2
	v_mul_f64 v[0:1], v[14:15], s[0:1]
	v_mul_f64 v[2:3], v[16:17], s[0:1]
	ds_read_b128 v[12:15], v255 offset:14976
	v_add_co_u32_e32 v22, vcc, s3, v22
	v_fma_f64 v[16:17], v[24:25], v[4:5], v[18:19]
	v_fma_f64 v[18:19], v[24:25], v[6:7], -v[20:21]
	ds_read_b128 v[4:7], v255 offset:16848
	buffer_load_dword v27, off, s[52:55], 0 offset:40 ; 4-byte Folded Reload
	buffer_load_dword v28, off, s[52:55], 0 offset:44 ; 4-byte Folded Reload
	;; [unrolled: 1-line block ×4, first 2 shown]
	v_addc_co_u32_e32 v23, vcc, v23, v26, vcc
	global_store_dwordx4 v[22:23], v[0:3], off
	v_mov_b32_e32 v26, s5
	v_mul_f64 v[0:1], v[16:17], s[0:1]
	v_mul_f64 v[2:3], v[18:19], s[0:1]
	s_waitcnt vmcnt(1) lgkmcnt(1)
	v_mul_f64 v[20:21], v[29:30], v[14:15]
	v_mul_f64 v[24:25], v[29:30], v[12:13]
	v_fma_f64 v[12:13], v[27:28], v[12:13], v[20:21]
	v_fma_f64 v[14:15], v[27:28], v[14:15], -v[24:25]
	buffer_load_dword v27, off, s[52:55], 0 offset:184 ; 4-byte Folded Reload
	buffer_load_dword v28, off, s[52:55], 0 offset:188 ; 4-byte Folded Reload
	;; [unrolled: 1-line block ×4, first 2 shown]
	v_add_co_u32_e32 v20, vcc, s4, v22
	v_addc_co_u32_e32 v21, vcc, v23, v26, vcc
	global_store_dwordx4 v[20:21], v[0:3], off
	buffer_load_dword v23, off, s[52:55], 0 offset:200 ; 4-byte Folded Reload
	buffer_load_dword v24, off, s[52:55], 0 offset:204 ; 4-byte Folded Reload
	;; [unrolled: 1-line block ×4, first 2 shown]
	v_mul_f64 v[0:1], v[12:13], s[0:1]
	v_mul_f64 v[2:3], v[14:15], s[0:1]
	v_mov_b32_e32 v22, s2
	s_waitcnt vmcnt(5)
	v_mul_f64 v[16:17], v[29:30], v[10:11]
	v_mul_f64 v[18:19], v[29:30], v[8:9]
	s_waitcnt vmcnt(0) lgkmcnt(0)
	v_mul_f64 v[12:13], v[25:26], v[6:7]
	v_mul_f64 v[14:15], v[25:26], v[4:5]
	v_fma_f64 v[8:9], v[27:28], v[8:9], v[16:17]
	v_fma_f64 v[10:11], v[27:28], v[10:11], -v[18:19]
	v_add_co_u32_e32 v16, vcc, s3, v20
	v_addc_co_u32_e32 v17, vcc, v21, v22, vcc
	global_store_dwordx4 v[16:17], v[0:3], off
	v_fma_f64 v[12:13], v[23:24], v[4:5], v[12:13]
	v_mul_f64 v[0:1], v[8:9], s[0:1]
	v_mul_f64 v[2:3], v[10:11], s[0:1]
	ds_read_b128 v[8:11], v255 offset:7488
	v_fma_f64 v[14:15], v[23:24], v[6:7], -v[14:15]
	ds_read_b128 v[4:7], v255 offset:9360
	buffer_load_dword v23, off, s[52:55], 0 offset:88 ; 4-byte Folded Reload
	buffer_load_dword v24, off, s[52:55], 0 offset:92 ; 4-byte Folded Reload
	;; [unrolled: 1-line block ×4, first 2 shown]
	v_mov_b32_e32 v22, s5
	v_add_co_u32_e32 v16, vcc, s4, v16
	v_addc_co_u32_e32 v17, vcc, v17, v22, vcc
	global_store_dwordx4 v[16:17], v[0:3], off
	v_add_co_u32_e32 v16, vcc, s3, v16
	v_mul_f64 v[0:1], v[12:13], s[0:1]
	v_mul_f64 v[2:3], v[14:15], s[0:1]
	ds_read_b128 v[12:15], v255 offset:18720
	s_waitcnt vmcnt(1) lgkmcnt(2)
	v_mul_f64 v[18:19], v[25:26], v[10:11]
	v_mul_f64 v[20:21], v[25:26], v[8:9]
	v_mov_b32_e32 v26, s2
	v_addc_co_u32_e32 v17, vcc, v17, v26, vcc
	v_fma_f64 v[18:19], v[23:24], v[8:9], v[18:19]
	v_fma_f64 v[20:21], v[23:24], v[10:11], -v[20:21]
	ds_read_b128 v[8:11], v255 offset:20592
	buffer_load_dword v27, off, s[52:55], 0 offset:56 ; 4-byte Folded Reload
	buffer_load_dword v28, off, s[52:55], 0 offset:60 ; 4-byte Folded Reload
	;; [unrolled: 1-line block ×4, first 2 shown]
	s_waitcnt vmcnt(0) lgkmcnt(1)
	v_mul_f64 v[22:23], v[29:30], v[14:15]
	v_mul_f64 v[24:25], v[29:30], v[12:13]
	global_store_dwordx4 v[16:17], v[0:3], off
	v_add_co_u32_e32 v16, vcc, s4, v16
	v_mul_f64 v[0:1], v[18:19], s[0:1]
	v_mov_b32_e32 v18, s5
	v_mul_f64 v[2:3], v[20:21], s[0:1]
	v_fma_f64 v[12:13], v[27:28], v[12:13], v[22:23]
	v_fma_f64 v[14:15], v[27:28], v[14:15], -v[24:25]
	buffer_load_dword v26, off, s[52:55], 0 offset:104 ; 4-byte Folded Reload
	buffer_load_dword v27, off, s[52:55], 0 offset:108 ; 4-byte Folded Reload
	;; [unrolled: 1-line block ×4, first 2 shown]
	v_addc_co_u32_e32 v17, vcc, v17, v18, vcc
	s_waitcnt vmcnt(0)
	v_mul_f64 v[18:19], v[28:29], v[6:7]
	v_mul_f64 v[20:21], v[28:29], v[4:5]
	buffer_load_dword v28, off, s[52:55], 0 offset:136 ; 4-byte Folded Reload
	buffer_load_dword v29, off, s[52:55], 0 offset:140 ; 4-byte Folded Reload
	;; [unrolled: 1-line block ×4, first 2 shown]
	v_fma_f64 v[4:5], v[26:27], v[4:5], v[18:19]
	global_store_dwordx4 v[16:17], v[0:3], off
	v_fma_f64 v[6:7], v[26:27], v[6:7], -v[20:21]
	v_mul_f64 v[0:1], v[12:13], s[0:1]
	v_mul_f64 v[2:3], v[14:15], s[0:1]
	v_mov_b32_e32 v13, s2
	v_add_co_u32_e32 v12, vcc, s3, v16
	v_addc_co_u32_e32 v13, vcc, v17, v13, vcc
	v_mov_b32_e32 v14, s5
	global_store_dwordx4 v[12:13], v[0:3], off
	s_nop 0
	v_mul_f64 v[0:1], v[4:5], s[0:1]
	v_mul_f64 v[2:3], v[6:7], s[0:1]
	s_waitcnt vmcnt(2) lgkmcnt(0)
	v_mul_f64 v[22:23], v[30:31], v[10:11]
	v_mul_f64 v[24:25], v[30:31], v[8:9]
	v_fma_f64 v[8:9], v[28:29], v[8:9], v[22:23]
	v_fma_f64 v[10:11], v[28:29], v[10:11], -v[24:25]
	v_mul_f64 v[4:5], v[8:9], s[0:1]
	v_mul_f64 v[6:7], v[10:11], s[0:1]
	v_add_co_u32_e32 v8, vcc, s4, v12
	v_addc_co_u32_e32 v9, vcc, v13, v14, vcc
	global_store_dwordx4 v[8:9], v[0:3], off
	s_nop 0
	v_mov_b32_e32 v1, s2
	v_add_co_u32_e32 v0, vcc, s3, v8
	v_addc_co_u32_e32 v1, vcc, v9, v1, vcc
	global_store_dwordx4 v[0:1], v[4:7], off
.LBB0_10:
	s_endpgm
	.section	.rodata,"a",@progbits
	.p2align	6, 0x0
	.amdhsa_kernel bluestein_single_fwd_len1404_dim1_dp_op_CI_CI
		.amdhsa_group_segment_fixed_size 22464
		.amdhsa_private_segment_fixed_size 532
		.amdhsa_kernarg_size 104
		.amdhsa_user_sgpr_count 6
		.amdhsa_user_sgpr_private_segment_buffer 1
		.amdhsa_user_sgpr_dispatch_ptr 0
		.amdhsa_user_sgpr_queue_ptr 0
		.amdhsa_user_sgpr_kernarg_segment_ptr 1
		.amdhsa_user_sgpr_dispatch_id 0
		.amdhsa_user_sgpr_flat_scratch_init 0
		.amdhsa_user_sgpr_private_segment_size 0
		.amdhsa_uses_dynamic_stack 0
		.amdhsa_system_sgpr_private_segment_wavefront_offset 1
		.amdhsa_system_sgpr_workgroup_id_x 1
		.amdhsa_system_sgpr_workgroup_id_y 0
		.amdhsa_system_sgpr_workgroup_id_z 0
		.amdhsa_system_sgpr_workgroup_info 0
		.amdhsa_system_vgpr_workitem_id 0
		.amdhsa_next_free_vgpr 256
		.amdhsa_next_free_sgpr 56
		.amdhsa_reserve_vcc 1
		.amdhsa_reserve_flat_scratch 0
		.amdhsa_float_round_mode_32 0
		.amdhsa_float_round_mode_16_64 0
		.amdhsa_float_denorm_mode_32 3
		.amdhsa_float_denorm_mode_16_64 3
		.amdhsa_dx10_clamp 1
		.amdhsa_ieee_mode 1
		.amdhsa_fp16_overflow 0
		.amdhsa_exception_fp_ieee_invalid_op 0
		.amdhsa_exception_fp_denorm_src 0
		.amdhsa_exception_fp_ieee_div_zero 0
		.amdhsa_exception_fp_ieee_overflow 0
		.amdhsa_exception_fp_ieee_underflow 0
		.amdhsa_exception_fp_ieee_inexact 0
		.amdhsa_exception_int_div_zero 0
	.end_amdhsa_kernel
	.text
.Lfunc_end0:
	.size	bluestein_single_fwd_len1404_dim1_dp_op_CI_CI, .Lfunc_end0-bluestein_single_fwd_len1404_dim1_dp_op_CI_CI
                                        ; -- End function
	.section	.AMDGPU.csdata,"",@progbits
; Kernel info:
; codeLenInByte = 23256
; NumSgprs: 60
; NumVgprs: 256
; ScratchSize: 532
; MemoryBound: 0
; FloatMode: 240
; IeeeMode: 1
; LDSByteSize: 22464 bytes/workgroup (compile time only)
; SGPRBlocks: 7
; VGPRBlocks: 63
; NumSGPRsForWavesPerEU: 60
; NumVGPRsForWavesPerEU: 256
; Occupancy: 1
; WaveLimiterHint : 1
; COMPUTE_PGM_RSRC2:SCRATCH_EN: 1
; COMPUTE_PGM_RSRC2:USER_SGPR: 6
; COMPUTE_PGM_RSRC2:TRAP_HANDLER: 0
; COMPUTE_PGM_RSRC2:TGID_X_EN: 1
; COMPUTE_PGM_RSRC2:TGID_Y_EN: 0
; COMPUTE_PGM_RSRC2:TGID_Z_EN: 0
; COMPUTE_PGM_RSRC2:TIDIG_COMP_CNT: 0
	.type	__hip_cuid_cf6243a071e8c31b,@object ; @__hip_cuid_cf6243a071e8c31b
	.section	.bss,"aw",@nobits
	.globl	__hip_cuid_cf6243a071e8c31b
__hip_cuid_cf6243a071e8c31b:
	.byte	0                               ; 0x0
	.size	__hip_cuid_cf6243a071e8c31b, 1

	.ident	"AMD clang version 19.0.0git (https://github.com/RadeonOpenCompute/llvm-project roc-6.4.0 25133 c7fe45cf4b819c5991fe208aaa96edf142730f1d)"
	.section	".note.GNU-stack","",@progbits
	.addrsig
	.addrsig_sym __hip_cuid_cf6243a071e8c31b
	.amdgpu_metadata
---
amdhsa.kernels:
  - .args:
      - .actual_access:  read_only
        .address_space:  global
        .offset:         0
        .size:           8
        .value_kind:     global_buffer
      - .actual_access:  read_only
        .address_space:  global
        .offset:         8
        .size:           8
        .value_kind:     global_buffer
      - .actual_access:  read_only
        .address_space:  global
        .offset:         16
        .size:           8
        .value_kind:     global_buffer
      - .actual_access:  read_only
        .address_space:  global
        .offset:         24
        .size:           8
        .value_kind:     global_buffer
      - .actual_access:  read_only
        .address_space:  global
        .offset:         32
        .size:           8
        .value_kind:     global_buffer
      - .offset:         40
        .size:           8
        .value_kind:     by_value
      - .address_space:  global
        .offset:         48
        .size:           8
        .value_kind:     global_buffer
      - .address_space:  global
        .offset:         56
        .size:           8
        .value_kind:     global_buffer
      - .address_space:  global
        .offset:         64
        .size:           8
        .value_kind:     global_buffer
      - .address_space:  global
        .offset:         72
        .size:           8
        .value_kind:     global_buffer
      - .offset:         80
        .size:           4
        .value_kind:     by_value
      - .address_space:  global
        .offset:         88
        .size:           8
        .value_kind:     global_buffer
      - .address_space:  global
        .offset:         96
        .size:           8
        .value_kind:     global_buffer
    .group_segment_fixed_size: 22464
    .kernarg_segment_align: 8
    .kernarg_segment_size: 104
    .language:       OpenCL C
    .language_version:
      - 2
      - 0
    .max_flat_workgroup_size: 117
    .name:           bluestein_single_fwd_len1404_dim1_dp_op_CI_CI
    .private_segment_fixed_size: 532
    .sgpr_count:     60
    .sgpr_spill_count: 0
    .symbol:         bluestein_single_fwd_len1404_dim1_dp_op_CI_CI.kd
    .uniform_work_group_size: 1
    .uses_dynamic_stack: false
    .vgpr_count:     256
    .vgpr_spill_count: 136
    .wavefront_size: 64
amdhsa.target:   amdgcn-amd-amdhsa--gfx906
amdhsa.version:
  - 1
  - 2
...

	.end_amdgpu_metadata
